;; amdgpu-corpus repo=ROCm/rocFFT kind=compiled arch=gfx1201 opt=O3
	.text
	.amdgcn_target "amdgcn-amd-amdhsa--gfx1201"
	.amdhsa_code_object_version 6
	.protected	bluestein_single_fwd_len6144_dim1_sp_op_CI_CI ; -- Begin function bluestein_single_fwd_len6144_dim1_sp_op_CI_CI
	.globl	bluestein_single_fwd_len6144_dim1_sp_op_CI_CI
	.p2align	8
	.type	bluestein_single_fwd_len6144_dim1_sp_op_CI_CI,@function
bluestein_single_fwd_len6144_dim1_sp_op_CI_CI: ; @bluestein_single_fwd_len6144_dim1_sp_op_CI_CI
; %bb.0:
	s_load_b128 s[8:11], s[0:1], 0x28
	s_mov_b32 s2, ttmp9
	s_mov_b32 s3, 0
	s_mov_b32 s5, exec_lo
	s_wait_kmcnt 0x0
	v_cmpx_lt_u64_e64 s[2:3], s[8:9]
	s_cbranch_execz .LBB0_23
; %bb.1:
	s_clause 0x1
	s_load_b64 s[8:9], s[0:1], 0x0
	s_load_b64 s[12:13], s[0:1], 0x38
	v_dual_mov_b32 v66, s3 :: v_dual_mov_b32 v65, s2
	v_cmp_gt_u32_e32 vcc_lo, 0x180, v0
	v_lshlrev_b32_e32 v76, 3, v0
	s_and_saveexec_b32 s3, vcc_lo
	s_cbranch_execz .LBB0_3
; %bb.2:
	s_load_b64 s[4:5], s[0:1], 0x18
	s_wait_kmcnt 0x0
	s_load_b128 s[4:7], s[4:5], 0x0
	s_wait_kmcnt 0x0
	v_mad_co_u64_u32 v[1:2], null, s6, v65, 0
	v_mad_co_u64_u32 v[3:4], null, s4, v0, 0
	s_delay_alu instid0(VALU_DEP_1) | instskip(NEXT) | instid1(VALU_DEP_1)
	v_mad_co_u64_u32 v[5:6], null, s7, v65, v[2:3]
	v_mad_co_u64_u32 v[6:7], null, s5, v0, v[4:5]
	v_mov_b32_e32 v2, v5
	s_mul_u64 s[4:5], s[4:5], 0xc00
	s_delay_alu instid0(VALU_DEP_1) | instskip(NEXT) | instid1(VALU_DEP_3)
	v_lshlrev_b64_e32 v[1:2], 3, v[1:2]
	v_mov_b32_e32 v4, v6
	s_clause 0x3
	global_load_b64 v[5:6], v76, s[8:9]
	global_load_b64 v[7:8], v76, s[8:9] offset:3072
	global_load_b64 v[9:10], v76, s[8:9] offset:6144
	;; [unrolled: 1-line block ×3, first 2 shown]
	v_add_co_u32 v19, s2, s10, v1
	v_lshlrev_b64_e32 v[3:4], 3, v[3:4]
	s_wait_alu 0xf1ff
	v_add_co_ci_u32_e64 v20, s2, s11, v2, s2
	s_clause 0x9
	global_load_b64 v[1:2], v76, s[8:9] offset:12288
	global_load_b64 v[13:14], v76, s[8:9] offset:15360
	;; [unrolled: 1-line block ×10, first 2 shown]
	v_add_co_u32 v3, s2, v19, v3
	s_wait_alu 0xf1ff
	v_add_co_ci_u32_e64 v4, s2, v20, v4, s2
	s_wait_alu 0xfffe
	s_delay_alu instid0(VALU_DEP_2) | instskip(SKIP_1) | instid1(VALU_DEP_2)
	v_add_co_u32 v19, s2, v3, s4
	s_wait_alu 0xf1ff
	v_add_co_ci_u32_e64 v20, s2, s5, v4, s2
	global_load_b64 v[3:4], v[3:4], off
	v_add_co_u32 v29, s2, v19, s4
	s_wait_alu 0xf1ff
	v_add_co_ci_u32_e64 v30, s2, s5, v20, s2
	s_delay_alu instid0(VALU_DEP_2) | instskip(SKIP_1) | instid1(VALU_DEP_2)
	v_add_co_u32 v35, s2, v29, s4
	s_wait_alu 0xf1ff
	v_add_co_ci_u32_e64 v36, s2, s5, v30, s2
	s_delay_alu instid0(VALU_DEP_2) | instskip(SKIP_1) | instid1(VALU_DEP_2)
	v_add_co_u32 v37, s2, v35, s4
	s_wait_alu 0xf1ff
	v_add_co_ci_u32_e64 v38, s2, s5, v36, s2
	s_clause 0x2
	global_load_b64 v[19:20], v[19:20], off
	global_load_b64 v[29:30], v[29:30], off
	;; [unrolled: 1-line block ×3, first 2 shown]
	v_add_co_u32 v39, s2, v37, s4
	s_wait_alu 0xf1ff
	v_add_co_ci_u32_e64 v40, s2, s5, v38, s2
	global_load_b64 v[37:38], v[37:38], off
	v_add_co_u32 v41, s2, v39, s4
	s_wait_alu 0xf1ff
	v_add_co_ci_u32_e64 v42, s2, s5, v40, s2
	global_load_b64 v[39:40], v[39:40], off
	;; [unrolled: 4-line block ×11, first 2 shown]
	s_clause 0x1
	global_load_b64 v[61:62], v76, s[8:9] offset:43008
	global_load_b64 v[63:64], v76, s[8:9] offset:46080
	global_load_b64 v[59:60], v[59:60], off
	s_wait_loadcnt 0x11
	v_mul_f32_e32 v66, v4, v6
	v_mul_f32_e32 v6, v3, v6
	s_delay_alu instid0(VALU_DEP_2) | instskip(NEXT) | instid1(VALU_DEP_2)
	v_fmac_f32_e32 v66, v3, v5
	v_fma_f32 v67, v4, v5, -v6
	s_wait_loadcnt 0x10
	v_mul_f32_e32 v3, v20, v8
	s_wait_loadcnt 0xf
	v_dual_mul_f32 v5, v30, v10 :: v_dual_mul_f32 v4, v19, v8
	v_mul_f32_e32 v6, v29, v10
	s_wait_loadcnt 0xe
	v_dual_mul_f32 v8, v36, v12 :: v_dual_fmac_f32 v3, v19, v7
	s_delay_alu instid0(VALU_DEP_3) | instskip(SKIP_4) | instid1(VALU_DEP_3)
	v_fmac_f32_e32 v5, v29, v9
	v_fma_f32 v4, v20, v7, -v4
	v_mul_f32_e32 v7, v35, v12
	v_fma_f32 v6, v30, v9, -v6
	v_fmac_f32_e32 v8, v35, v11
	v_fma_f32 v9, v36, v11, -v7
	ds_store_2addr_stride64_b64 v76, v[66:67], v[3:4] offset1:6
	ds_store_2addr_stride64_b64 v76, v[5:6], v[8:9] offset0:12 offset1:18
	s_wait_loadcnt 0xa
	v_mul_f32_e32 v3, v44, v18
	v_mul_f32_e32 v10, v38, v2
	v_mul_f32_e32 v2, v37, v2
	v_mul_f32_e32 v4, v43, v18
	s_wait_loadcnt 0x9
	v_mul_f32_e32 v5, v46, v22
	v_dual_mul_f32 v12, v40, v14 :: v_dual_fmac_f32 v3, v43, v17
	v_fmac_f32_e32 v10, v37, v1
	s_delay_alu instid0(VALU_DEP_3) | instskip(SKIP_1) | instid1(VALU_DEP_3)
	v_fmac_f32_e32 v5, v45, v21
	s_wait_loadcnt 0x8
	v_dual_fmac_f32 v12, v39, v13 :: v_dual_mul_f32 v7, v48, v24
	v_fma_f32 v11, v38, v1, -v2
	v_mul_f32_e32 v1, v42, v16
	s_wait_loadcnt 0x7
	v_mul_f32_e32 v9, v50, v26
	v_mul_f32_e32 v14, v39, v14
	v_dual_mul_f32 v2, v41, v16 :: v_dual_fmac_f32 v7, v47, v23
	s_delay_alu instid0(VALU_DEP_3) | instskip(NEXT) | instid1(VALU_DEP_3)
	v_dual_mul_f32 v8, v47, v24 :: v_dual_fmac_f32 v9, v49, v25
	v_fma_f32 v13, v40, v13, -v14
	v_fmac_f32_e32 v1, v41, v15
	s_delay_alu instid0(VALU_DEP_4)
	v_fma_f32 v2, v42, v15, -v2
	s_wait_loadcnt 0x5
	v_mul_f32_e32 v14, v53, v32
	ds_store_2addr_stride64_b64 v76, v[10:11], v[12:13] offset0:24 offset1:30
	v_dual_mul_f32 v11, v52, v28 :: v_dual_mul_f32 v6, v45, v22
	v_mul_f32_e32 v13, v54, v32
	s_wait_loadcnt 0x4
	v_dual_mul_f32 v12, v51, v28 :: v_dual_mul_f32 v15, v56, v34
	v_mul_f32_e32 v10, v49, v26
	v_mul_f32_e32 v16, v55, v34
	v_fma_f32 v4, v44, v17, -v4
	s_wait_loadcnt 0x0
	v_mul_f32_e32 v19, v60, v64
	v_mul_f32_e32 v17, v58, v62
	;; [unrolled: 1-line block ×4, first 2 shown]
	v_fma_f32 v8, v48, v23, -v8
	v_fmac_f32_e32 v11, v51, v27
	v_fmac_f32_e32 v17, v57, v61
	v_fma_f32 v6, v46, v21, -v6
	v_fmac_f32_e32 v13, v53, v31
	v_fma_f32 v12, v52, v27, -v12
	;; [unrolled: 2-line block ×3, first 2 shown]
	v_fma_f32 v14, v54, v31, -v14
	v_fma_f32 v16, v56, v33, -v16
	v_fmac_f32_e32 v19, v59, v63
	v_fma_f32 v18, v58, v61, -v18
	v_fma_f32 v20, v60, v63, -v20
	ds_store_2addr_stride64_b64 v76, v[1:2], v[3:4] offset0:36 offset1:42
	ds_store_2addr_stride64_b64 v76, v[5:6], v[7:8] offset0:48 offset1:54
	;; [unrolled: 1-line block ×5, first 2 shown]
.LBB0_3:
	s_wait_alu 0xfffe
	s_or_b32 exec_lo, exec_lo, s3
	s_load_b64 s[4:5], s[0:1], 0x20
	global_wb scope:SCOPE_SE
	s_wait_dscnt 0x0
	s_wait_kmcnt 0x0
	s_barrier_signal -1
	s_barrier_wait -1
	global_inv scope:SCOPE_SE
                                        ; implicit-def: $vgpr27
                                        ; implicit-def: $vgpr23
                                        ; implicit-def: $vgpr19
                                        ; implicit-def: $vgpr31
                                        ; implicit-def: $vgpr7
                                        ; implicit-def: $vgpr15
                                        ; implicit-def: $vgpr3
                                        ; implicit-def: $vgpr11
	s_and_saveexec_b32 s2, vcc_lo
	s_cbranch_execz .LBB0_5
; %bb.4:
	ds_load_2addr_stride64_b64 v[9:12], v76 offset1:6
	ds_load_2addr_stride64_b64 v[1:4], v76 offset0:12 offset1:18
	ds_load_2addr_stride64_b64 v[17:20], v76 offset0:24 offset1:72
	;; [unrolled: 1-line block ×7, first 2 shown]
.LBB0_5:
	s_wait_alu 0xfffe
	s_or_b32 exec_lo, exec_lo, s2
	s_wait_dscnt 0x3
	v_dual_sub_f32 v7, v9, v7 :: v_dual_sub_f32 v8, v10, v8
	v_dual_sub_f32 v19, v17, v19 :: v_dual_sub_f32 v20, v18, v20
	s_wait_dscnt 0x2
	v_dual_sub_f32 v31, v1, v31 :: v_dual_sub_f32 v32, v2, v32
	s_delay_alu instid0(VALU_DEP_3) | instskip(NEXT) | instid1(VALU_DEP_3)
	v_fma_f32 v33, v9, 2.0, -v7
	v_fma_f32 v9, v17, 2.0, -v19
	s_wait_dscnt 0x0
	v_dual_sub_f32 v17, v15, v25 :: v_dual_sub_f32 v26, v16, v26
	v_dual_sub_f32 v29, v11, v29 :: v_dual_sub_f32 v36, v12, v30
	v_dual_sub_f32 v23, v13, v23 :: v_dual_sub_f32 v24, v14, v24
	s_delay_alu instid0(VALU_DEP_3)
	v_fma_f32 v15, v15, 2.0, -v17
	v_dual_sub_f32 v21, v3, v21 :: v_dual_sub_f32 v22, v4, v22
	v_dual_sub_f32 v27, v5, v27 :: v_dual_sub_f32 v28, v6, v28
	v_add_f32_e32 v17, v17, v32
	v_fma_f32 v10, v10, 2.0, -v8
	v_fma_f32 v18, v18, 2.0, -v20
	s_delay_alu instid0(VALU_DEP_4)
	v_add_f32_e32 v42, v27, v22
	v_fma_f32 v34, v1, 2.0, -v31
	v_fma_f32 v37, v12, 2.0, -v36
	;; [unrolled: 1-line block ×3, first 2 shown]
	v_add_f32_e32 v25, v19, v8
	v_dual_sub_f32 v19, v31, v26 :: v_dual_sub_f32 v30, v29, v24
	v_fma_f32 v24, v32, 2.0, -v17
	v_sub_f32_e32 v12, v7, v20
	v_fma_f32 v35, v2, 2.0, -v32
	v_fma_f32 v11, v11, 2.0, -v29
	;; [unrolled: 1-line block ×3, first 2 shown]
	v_dual_sub_f32 v2, v33, v9 :: v_dual_sub_f32 v9, v10, v18
	v_fma_f32 v39, v4, 2.0, -v22
	v_sub_f32_e32 v18, v34, v15
	v_fma_f32 v4, v7, 2.0, -v12
	v_fma_f32 v7, v8, 2.0, -v25
	;; [unrolled: 1-line block ×6, first 2 shown]
	v_dual_sub_f32 v13, v11, v13 :: v_dual_sub_f32 v26, v37, v14
	v_fma_f32 v33, v31, 2.0, -v19
	v_fmamk_f32 v27, v24, 0xbf3504f3, v7
	v_fma_f32 v38, v3, 2.0, -v21
	v_fma_f32 v3, v10, 2.0, -v9
	v_sub_f32_e32 v10, v35, v16
	v_fma_f32 v8, v34, 2.0, -v18
	v_fmac_f32_e32 v27, 0x3f3504f3, v33
	v_fma_f32 v6, v37, 2.0, -v26
	v_dual_add_f32 v31, v23, v36 :: v_dual_fmamk_f32 v16, v33, 0xbf3504f3, v4
	s_delay_alu instid0(VALU_DEP_4)
	v_dual_sub_f32 v37, v39, v41 :: v_dual_sub_f32 v8, v1, v8
	v_sub_f32_e32 v41, v21, v28
	v_fma_f32 v20, v35, 2.0, -v10
	v_sub_f32_e32 v10, v2, v10
	v_fma_f32 v5, v11, 2.0, -v13
	v_fma_f32 v11, v29, 2.0, -v30
	v_sub_f32_e32 v23, v38, v40
	v_fma_f32 v15, v36, 2.0, -v31
	v_fmamk_f32 v36, v17, 0x3f3504f3, v25
	v_fma_f32 v21, v21, 2.0, -v41
	v_fma_f32 v22, v22, 2.0, -v42
	s_load_b64 s[2:3], s[0:1], 0x8
	v_fma_f32 v28, v38, 2.0, -v23
	v_fma_f32 v29, v39, 2.0, -v37
	s_delay_alu instid0(VALU_DEP_3) | instskip(SKIP_1) | instid1(VALU_DEP_3)
	v_dual_fmac_f32 v16, 0xbf3504f3, v24 :: v_dual_fmamk_f32 v33, v22, 0xbf3504f3, v15
	v_dual_fmamk_f32 v35, v19, 0x3f3504f3, v12 :: v_dual_add_f32 v34, v18, v9
	v_dual_fmamk_f32 v32, v21, 0xbf3504f3, v11 :: v_dual_sub_f32 v29, v6, v29
	v_dual_fmamk_f32 v39, v41, 0x3f3504f3, v30 :: v_dual_fmamk_f32 v40, v42, 0x3f3504f3, v31
	s_delay_alu instid0(VALU_DEP_3) | instskip(SKIP_1) | instid1(VALU_DEP_3)
	v_dual_sub_f32 v14, v3, v20 :: v_dual_fmac_f32 v35, 0xbf3504f3, v17
	v_dual_fmac_f32 v36, 0x3f3504f3, v19 :: v_dual_fmac_f32 v33, 0x3f3504f3, v21
	v_dual_sub_f32 v28, v5, v28 :: v_dual_fmac_f32 v39, 0xbf3504f3, v42
	v_dual_fmac_f32 v32, 0xbf3504f3, v22 :: v_dual_sub_f32 v37, v13, v37
	v_add_f32_e32 v38, v23, v26
	v_fmac_f32_e32 v40, 0x3f3504f3, v41
	v_dual_sub_f32 v17, v8, v29 :: v_dual_fmamk_f32 v20, v33, 0x3ec3ef15, v27
	s_delay_alu instid0(VALU_DEP_4) | instskip(SKIP_3) | instid1(VALU_DEP_4)
	v_fmamk_f32 v19, v32, 0x3ec3ef15, v16
	v_fmamk_f32 v21, v37, 0x3f3504f3, v10
	;; [unrolled: 1-line block ×3, first 2 shown]
	v_dual_fmamk_f32 v23, v39, 0x3f6c835e, v35 :: v_dual_fmamk_f32 v24, v40, 0x3f6c835e, v36
	v_dual_add_f32 v18, v28, v14 :: v_dual_fmac_f32 v19, 0xbf6c835e, v33
	v_fmac_f32_e32 v20, 0x3f6c835e, v32
	v_fmac_f32_e32 v21, 0xbf3504f3, v38
	;; [unrolled: 1-line block ×5, first 2 shown]
	global_wb scope:SCOPE_SE
	s_wait_kmcnt 0x0
	s_barrier_signal -1
	s_barrier_wait -1
	global_inv scope:SCOPE_SE
	s_and_saveexec_b32 s0, vcc_lo
	s_cbranch_execz .LBB0_7
; %bb.6:
	v_fma_f32 v25, v25, 2.0, -v36
	v_fma_f32 v31, v31, 2.0, -v40
	;; [unrolled: 1-line block ×7, first 2 shown]
	v_fmamk_f32 v36, v31, 0xbec3ef15, v25
	v_fma_f32 v39, v34, 2.0, -v22
	v_fmamk_f32 v34, v26, 0xbf3504f3, v9
	v_fma_f32 v13, v13, 2.0, -v37
	v_fma_f32 v40, v35, 2.0, -v23
	v_fma_f32 v45, v27, 2.0, -v20
	v_fmamk_f32 v35, v30, 0xbec3ef15, v12
	v_fma_f32 v7, v7, 2.0, -v27
	v_fma_f32 v27, v4, 2.0, -v16
	;; [unrolled: 1-line block ×4, first 2 shown]
	v_dual_fmac_f32 v36, 0x3f6c835e, v30 :: v_dual_lshlrev_b32 v5, 7, v0
	v_fmac_f32_e32 v34, 0x3f3504f3, v13
	v_fma_f32 v11, v11, 2.0, -v32
	v_fma_f32 v44, v16, 2.0, -v19
	;; [unrolled: 1-line block ×9, first 2 shown]
	v_fmamk_f32 v16, v25, 0xbf6c835e, v7
	v_fmamk_f32 v15, v11, 0xbf6c835e, v27
	v_fmamk_f32 v33, v13, 0xbf3504f3, v9
	s_delay_alu instid0(VALU_DEP_4) | instskip(NEXT) | instid1(VALU_DEP_4)
	v_dual_sub_f32 v13, v1, v4 :: v_dual_sub_f32 v14, v2, v3
	v_fmac_f32_e32 v16, 0x3ec3ef15, v11
	s_delay_alu instid0(VALU_DEP_4)
	v_fmac_f32_e32 v15, 0xbec3ef15, v25
	v_fmac_f32_e32 v35, 0xbf6c835e, v31
	;; [unrolled: 1-line block ×3, first 2 shown]
	v_fma_f32 v2, v2, 2.0, -v14
	v_fma_f32 v4, v7, 2.0, -v16
	;; [unrolled: 1-line block ×8, first 2 shown]
	ds_store_b128 v5, v[1:4]
	ds_store_b128 v5, v[46:49] offset:16
	ds_store_b128 v5, v[42:45] offset:32
	;; [unrolled: 1-line block ×7, first 2 shown]
.LBB0_7:
	s_or_b32 exec_lo, exec_lo, s0
	v_and_b32_e32 v37, 15, v0
	s_load_b128 s[4:7], s[4:5], 0x0
	global_wb scope:SCOPE_SE
	s_wait_dscnt 0x0
	s_wait_kmcnt 0x0
	s_barrier_signal -1
	s_barrier_wait -1
	v_mad_co_u64_u32 v[1:2], null, v37, 24, s[2:3]
	global_inv scope:SCOPE_SE
	v_or_b32_e32 v49, 0x200, v0
	v_or_b32_e32 v77, 0x7000, v76
	s_clause 0x1
	global_load_b128 v[13:16], v[1:2], off
	global_load_b64 v[68:69], v[1:2], off offset:16
	ds_load_2addr_stride64_b64 v[1:4], v76 offset0:16 offset1:24
	ds_load_2addr_stride64_b64 v[5:8], v76 offset0:32 offset1:48
	ds_load_2addr_stride64_b64 v[9:12], v76 offset1:8
	ds_load_2addr_stride64_b64 v[25:28], v76 offset0:64 offset1:72
	ds_load_2addr_stride64_b64 v[29:32], v76 offset0:40 offset1:56
	v_lshlrev_b32_e32 v33, 2, v0
	v_lshlrev_b32_e32 v39, 2, v49
	s_wait_loadcnt_dscnt 0x100
	v_dual_mul_f32 v51, v29, v14 :: v_dual_mul_f32 v52, v26, v16
	s_wait_loadcnt 0x0
	v_mul_f32_e32 v42, v27, v69
	v_and_or_b32 v38, 0x7c0, v33, v37
	v_or_b32_e32 v40, 0x1000, v33
	ds_load_b64 v[33:34], v76 offset:40960
	ds_load_b64 v[35:36], v76 offset:45056
	v_dual_mul_f32 v41, v28, v69 :: v_dual_mul_f32 v50, v30, v14
	v_dual_mul_f32 v46, v31, v16 :: v_dual_lshlrev_b32 v83, 3, v38
	v_and_or_b32 v38, 0xfc0, v39, v37
	v_mul_f32_e32 v39, v8, v16
	v_mul_f32_e32 v43, v6, v14
	s_delay_alu instid0(VALU_DEP_4) | instskip(NEXT) | instid1(VALU_DEP_4)
	v_dual_fmac_f32 v51, v30, v13 :: v_dual_fmac_f32 v46, v32, v15
	v_lshlrev_b32_e32 v82, 3, v38
	v_mul_f32_e32 v38, v3, v14
	v_and_or_b32 v37, 0x17c0, v40, v37
	v_mul_f32_e32 v40, v7, v16
	v_dual_mul_f32 v44, v5, v14 :: v_dual_mul_f32 v45, v32, v16
	s_delay_alu instid0(VALU_DEP_4) | instskip(NEXT) | instid1(VALU_DEP_4)
	v_dual_mul_f32 v53, v25, v16 :: v_dual_fmac_f32 v38, v4, v13
	v_lshlrev_b32_e32 v81, 3, v37
	s_wait_dscnt 0x1
	v_dual_mul_f32 v37, v4, v14 :: v_dual_mul_f32 v48, v33, v69
	v_dual_mul_f32 v47, v34, v69 :: v_dual_fmac_f32 v40, v8, v15
	s_wait_dscnt 0x0
	v_mul_f32_e32 v54, v36, v69
	v_dual_mul_f32 v55, v35, v69 :: v_dual_fmac_f32 v42, v28, v68
	v_fma_f32 v3, v3, v13, -v37
	v_fma_f32 v4, v7, v15, -v39
	v_fma_f32 v7, v27, v68, -v41
	v_fma_f32 v5, v5, v13, -v43
	v_fmac_f32_e32 v44, v6, v13
	v_fma_f32 v6, v31, v15, -v45
	v_fma_f32 v8, v33, v68, -v47
	v_dual_fmac_f32 v48, v34, v68 :: v_dual_sub_f32 v31, v12, v46
	v_fma_f32 v27, v29, v13, -v50
	v_fma_f32 v25, v25, v15, -v52
	v_dual_fmac_f32 v53, v26, v15 :: v_dual_sub_f32 v28, v9, v4
	v_fma_f32 v26, v35, v68, -v54
	v_dual_fmac_f32 v55, v36, v68 :: v_dual_sub_f32 v4, v3, v7
	v_dual_sub_f32 v29, v10, v40 :: v_dual_sub_f32 v30, v11, v6
	v_dual_sub_f32 v7, v38, v42 :: v_dual_sub_f32 v6, v5, v8
	;; [unrolled: 1-line block ×3, first 2 shown]
	s_delay_alu instid0(VALU_DEP_4)
	v_dual_sub_f32 v32, v2, v53 :: v_dual_sub_f32 v33, v51, v55
	v_sub_f32_e32 v26, v27, v26
	v_fma_f32 v37, v9, 2.0, -v28
	v_fma_f32 v39, v10, 2.0, -v29
	;; [unrolled: 1-line block ×3, first 2 shown]
	v_sub_f32_e32 v3, v28, v7
	v_fma_f32 v10, v38, 2.0, -v7
	v_fma_f32 v38, v11, 2.0, -v30
	v_fma_f32 v40, v12, 2.0, -v31
	v_fma_f32 v11, v5, 2.0, -v6
	v_fma_f32 v12, v44, 2.0, -v8
	v_fma_f32 v41, v1, 2.0, -v25
	v_fma_f32 v42, v2, 2.0, -v32
	v_fma_f32 v27, v27, 2.0, -v26
	v_fma_f32 v34, v51, 2.0, -v33
	v_add_f32_e32 v4, v29, v4
	v_dual_sub_f32 v5, v30, v8 :: v_dual_add_f32 v6, v31, v6
	v_dual_sub_f32 v1, v37, v9 :: v_dual_sub_f32 v2, v39, v10
	v_dual_sub_f32 v35, v25, v33 :: v_dual_add_f32 v36, v32, v26
	v_dual_sub_f32 v9, v38, v11 :: v_dual_sub_f32 v10, v40, v12
	v_dual_sub_f32 v33, v41, v27 :: v_dual_sub_f32 v34, v42, v34
	v_fma_f32 v7, v28, 2.0, -v3
	v_fma_f32 v8, v29, 2.0, -v4
	;; [unrolled: 1-line block ×9, first 2 shown]
	global_wb scope:SCOPE_SE
	s_barrier_signal -1
	s_barrier_wait -1
	global_inv scope:SCOPE_SE
	v_fma_f32 v27, v25, 2.0, -v35
	v_fma_f32 v25, v41, 2.0, -v33
	;; [unrolled: 1-line block ×3, first 2 shown]
	ds_store_2addr_b64 v83, v[1:2], v[3:4] offset0:32 offset1:48
	ds_store_2addr_b64 v82, v[9:10], v[5:6] offset0:32 offset1:48
	;; [unrolled: 1-line block ×3, first 2 shown]
	ds_store_2addr_b64 v83, v[29:30], v[7:8] offset1:16
	ds_store_2addr_b64 v82, v[31:32], v[11:12] offset1:16
	;; [unrolled: 1-line block ×3, first 2 shown]
	global_wb scope:SCOPE_SE
	s_wait_dscnt 0x0
	s_barrier_signal -1
	s_barrier_wait -1
	global_inv scope:SCOPE_SE
	ds_load_2addr_stride64_b64 v[29:32], v76 offset1:12
	ds_load_2addr_stride64_b64 v[45:48], v76 offset0:24 offset1:36
	ds_load_2addr_stride64_b64 v[41:44], v76 offset0:48 offset1:60
	;; [unrolled: 1-line block ×3, first 2 shown]
	v_mov_b32_e32 v50, 0
	s_delay_alu instid0(VALU_DEP_1) | instskip(NEXT) | instid1(VALU_DEP_1)
	v_cmp_gt_u64_e64 s0, 0x300, v[49:50]
	s_and_saveexec_b32 s1, s0
	s_cbranch_execz .LBB0_9
; %bb.8:
	ds_load_2addr_stride64_b64 v[1:4], v76 offset0:68 offset1:80
	ds_load_2addr_stride64_b64 v[25:28], v76 offset0:8 offset1:20
	;; [unrolled: 1-line block ×3, first 2 shown]
	ds_load_b64 v[17:18], v77
	ds_load_b64 v[23:24], v76 offset:47104
	s_wait_dscnt 0x4
	v_dual_mov_b32 v21, v3 :: v_dual_mov_b32 v22, v4
	v_dual_mov_b32 v19, v1 :: v_dual_mov_b32 v20, v2
.LBB0_9:
	s_or_b32 exec_lo, exec_lo, s1
	v_and_b32_e32 v80, 63, v0
	v_or_b32_e32 v79, 0x5000, v76
	v_or_b32_e32 v78, 0xb000, v76
	s_delay_alu instid0(VALU_DEP_3)
	v_mad_co_u64_u32 v[50:51], null, v80, 56, s[2:3]
	s_clause 0x3
	global_load_b128 v[5:8], v[50:51], off offset:384
	global_load_b128 v[1:4], v[50:51], off offset:400
	;; [unrolled: 1-line block ×3, first 2 shown]
	global_load_b64 v[66:67], v[50:51], off offset:432
	v_lshlrev_b32_e32 v84, 3, v49
	global_wb scope:SCOPE_SE
	s_wait_loadcnt_dscnt 0x0
	s_barrier_signal -1
	s_barrier_wait -1
	global_inv scope:SCOPE_SE
	v_mul_f32_e32 v51, v46, v8
	v_mul_f32_e32 v49, v32, v6
	v_and_or_b32 v50, 0xe00, v76, v80
	v_dual_mul_f32 v53, v48, v2 :: v_dual_mul_f32 v56, v41, v4
	v_mul_f32_e32 v55, v42, v4
	s_delay_alu instid0(VALU_DEP_3)
	v_dual_mul_f32 v52, v45, v8 :: v_dual_lshlrev_b32 v85, 3, v50
	v_mul_f32_e32 v50, v31, v6
	v_dual_mul_f32 v54, v47, v2 :: v_dual_mul_f32 v59, v38, v12
	v_dual_mul_f32 v57, v44, v10 :: v_dual_mul_f32 v60, v37, v12
	;; [unrolled: 1-line block ×10, first 2 shown]
	v_fma_f32 v41, v41, v3, -v55
	v_mul_f32_e32 v90, v24, v67
	v_fma_f32 v31, v31, v5, -v49
	v_dual_fmac_f32 v50, v32, v5 :: v_dual_fmac_f32 v71, v34, v7
	v_fma_f32 v32, v45, v7, -v51
	v_dual_fmac_f32 v52, v46, v7 :: v_dual_fmac_f32 v73, v36, v1
	;; [unrolled: 2-line block ×3, first 2 shown]
	v_dual_fmac_f32 v56, v42, v3 :: v_dual_fmac_f32 v87, v20, v9
	v_fma_f32 v42, v43, v9, -v57
	v_dual_fmac_f32 v58, v44, v9 :: v_dual_fmac_f32 v89, v22, v11
	v_fma_f32 v37, v37, v11, -v59
	;; [unrolled: 2-line block ×3, first 2 shown]
	v_dual_fmac_f32 v62, v40, v66 :: v_dual_sub_f32 v39, v26, v75
	v_fma_f32 v27, v27, v5, -v63
	v_fmac_f32_e32 v64, v28, v5
	v_fma_f32 v28, v33, v7, -v70
	v_fma_f32 v33, v35, v1, -v72
	v_sub_f32_e32 v35, v50, v58
	v_fma_f32 v17, v17, v3, -v74
	v_fma_f32 v18, v19, v9, -v86
	;; [unrolled: 1-line block ×3, first 2 shown]
	v_sub_f32_e32 v21, v29, v41
	v_fma_f32 v20, v23, v66, -v90
	v_dual_sub_f32 v22, v30, v56 :: v_dual_sub_f32 v23, v32, v37
	v_dual_sub_f32 v24, v52, v60 :: v_dual_sub_f32 v37, v54, v62
	;; [unrolled: 1-line block ×3, first 2 shown]
	v_sub_f32_e32 v36, v45, v38
	v_dual_sub_f32 v38, v25, v17 :: v_dual_sub_f32 v41, v64, v87
	v_sub_f32_e32 v17, v71, v89
	v_dual_sub_f32 v40, v27, v18 :: v_dual_add_f32 v47, v22, v23
	v_sub_f32_e32 v18, v33, v20
	v_sub_f32_e32 v20, v73, v91
	v_fma_f32 v29, v29, 2.0, -v21
	v_fma_f32 v30, v30, 2.0, -v22
	;; [unrolled: 1-line block ×8, first 2 shown]
	v_dual_sub_f32 v46, v21, v24 :: v_dual_sub_f32 v23, v34, v37
	v_fma_f32 v49, v27, 2.0, -v40
	v_fma_f32 v50, v64, 2.0, -v41
	v_add_f32_e32 v24, v35, v36
	v_fma_f32 v36, v71, 2.0, -v17
	v_fma_f32 v27, v33, 2.0, -v18
	v_sub_f32_e32 v17, v38, v17
	v_fma_f32 v33, v73, 2.0, -v20
	v_fma_f32 v37, v25, 2.0, -v38
	;; [unrolled: 1-line block ×4, first 2 shown]
	v_add_f32_e32 v19, v39, v19
	v_sub_f32_e32 v33, v50, v33
	v_dual_sub_f32 v51, v40, v20 :: v_dual_add_f32 v52, v41, v18
	v_dual_sub_f32 v53, v29, v32 :: v_dual_sub_f32 v42, v30, v42
	v_fma_f32 v54, v21, 2.0, -v46
	v_fma_f32 v55, v22, 2.0, -v47
	v_sub_f32_e32 v32, v31, v44
	v_fma_f32 v56, v35, 2.0, -v24
	v_dual_fmamk_f32 v25, v23, 0x3f3504f3, v46 :: v_dual_fmamk_f32 v26, v24, 0x3f3504f3, v47
	v_sub_f32_e32 v44, v43, v45
	v_fma_f32 v45, v34, 2.0, -v23
	v_dual_sub_f32 v18, v37, v28 :: v_dual_fmamk_f32 v35, v51, 0x3f3504f3, v17
	v_fma_f32 v20, v38, 2.0, -v17
	v_fma_f32 v21, v39, 2.0, -v19
	v_sub_f32_e32 v34, v49, v27
	v_fma_f32 v57, v40, 2.0, -v51
	v_sub_f32_e32 v22, v48, v36
	v_fma_f32 v58, v41, 2.0, -v52
	v_fma_f32 v38, v29, 2.0, -v53
	;; [unrolled: 1-line block ×3, first 2 shown]
	v_fmamk_f32 v39, v57, 0xbf3504f3, v20
	v_fmamk_f32 v27, v45, 0xbf3504f3, v54
	v_fma_f32 v31, v31, 2.0, -v32
	v_fmamk_f32 v28, v56, 0xbf3504f3, v55
	v_fmac_f32_e32 v25, 0xbf3504f3, v24
	v_fma_f32 v41, v43, 2.0, -v44
	v_dual_fmamk_f32 v36, v52, 0x3f3504f3, v19 :: v_dual_sub_f32 v29, v53, v44
	v_fmac_f32_e32 v26, 0x3f3504f3, v23
	v_fma_f32 v23, v37, 2.0, -v18
	v_fma_f32 v24, v48, 2.0, -v22
	;; [unrolled: 1-line block ×3, first 2 shown]
	v_add_f32_e32 v30, v42, v32
	v_fma_f32 v49, v50, 2.0, -v33
	v_fmamk_f32 v40, v58, 0xbf3504f3, v21
	v_sub_f32_e32 v31, v38, v31
	v_sub_f32_e32 v37, v23, v37
	v_dual_sub_f32 v32, v59, v41 :: v_dual_fmac_f32 v27, 0xbf3504f3, v56
	v_fmac_f32_e32 v28, 0x3f3504f3, v45
	v_sub_f32_e32 v33, v18, v33
	v_dual_add_f32 v34, v22, v34 :: v_dual_fmac_f32 v35, 0xbf3504f3, v52
	v_fmac_f32_e32 v36, 0x3f3504f3, v51
	v_fma_f32 v43, v46, 2.0, -v25
	v_fma_f32 v44, v47, 2.0, -v26
	;; [unrolled: 1-line block ×6, first 2 shown]
	v_dual_sub_f32 v38, v24, v49 :: v_dual_fmac_f32 v39, 0xbf3504f3, v58
	v_fmac_f32_e32 v40, 0x3f3504f3, v57
	v_fma_f32 v41, v53, 2.0, -v29
	v_fma_f32 v42, v42, 2.0, -v30
	ds_store_2addr_stride64_b64 v85, v[45:46], v[47:48] offset1:1
	ds_store_2addr_stride64_b64 v85, v[41:42], v[43:44] offset0:2 offset1:3
	ds_store_2addr_stride64_b64 v85, v[31:32], v[27:28] offset0:4 offset1:5
	;; [unrolled: 1-line block ×3, first 2 shown]
	s_and_saveexec_b32 s1, s0
	s_cbranch_execz .LBB0_11
; %bb.10:
	v_fma_f32 v25, v17, 2.0, -v35
	v_and_or_b32 v17, 0x1e00, v84, v80
	v_fma_f32 v21, v21, 2.0, -v40
	v_fma_f32 v20, v20, 2.0, -v39
	;; [unrolled: 1-line block ×4, first 2 shown]
	v_lshlrev_b32_e32 v17, 3, v17
	v_fma_f32 v26, v19, 2.0, -v36
	v_fma_f32 v19, v22, 2.0, -v34
	;; [unrolled: 1-line block ×3, first 2 shown]
	ds_store_2addr_stride64_b64 v17, v[23:24], v[20:21] offset1:1
	ds_store_2addr_stride64_b64 v17, v[18:19], v[25:26] offset0:2 offset1:3
	ds_store_2addr_stride64_b64 v17, v[37:38], v[39:40] offset0:4 offset1:5
	;; [unrolled: 1-line block ×3, first 2 shown]
.LBB0_11:
	s_or_b32 exec_lo, exec_lo, s1
	v_lshlrev_b32_e32 v86, 4, v0
	global_wb scope:SCOPE_SE
	s_wait_dscnt 0x0
	s_barrier_signal -1
	s_barrier_wait -1
	global_inv scope:SCOPE_SE
	global_load_b128 v[17:20], v86, s[2:3] offset:3968
	ds_load_2addr_stride64_b64 v[21:24], v76 offset0:32 offset1:48
	ds_load_2addr_stride64_b64 v[25:28], v76 offset1:8
	ds_load_2addr_stride64_b64 v[29:32], v76 offset0:64 offset1:72
	ds_load_b64 v[45:46], v79
	ds_load_2addr_stride64_b64 v[41:44], v76 offset0:16 offset1:24
	ds_load_b64 v[47:48], v76 offset:40960
	ds_load_b64 v[49:50], v78
	ds_load_b64 v[51:52], v77
	global_wb scope:SCOPE_SE
	s_wait_loadcnt_dscnt 0x0
	s_barrier_signal -1
	s_barrier_wait -1
	global_inv scope:SCOPE_SE
	v_mul_f32_e32 v55, v22, v18
	v_dual_mul_f32 v56, v21, v18 :: v_dual_mul_f32 v57, v30, v20
	v_dual_mul_f32 v58, v29, v20 :: v_dual_mul_f32 v59, v46, v18
	;; [unrolled: 1-line block ×7, first 2 shown]
	v_mul_f32_e32 v74, v50, v20
	v_fma_f32 v21, v21, v17, -v55
	v_dual_fmac_f32 v58, v30, v19 :: v_dual_fmac_f32 v73, v52, v17
	v_fmac_f32_e32 v60, v46, v17
	v_fmac_f32_e32 v62, v32, v19
	;; [unrolled: 1-line block ×3, first 2 shown]
	v_fma_f32 v22, v29, v19, -v57
	v_fma_f32 v29, v45, v17, -v59
	;; [unrolled: 1-line block ×4, first 2 shown]
	v_dual_fmac_f32 v64, v24, v17 :: v_dual_fmac_f32 v75, v50, v19
	v_fma_f32 v31, v47, v19, -v70
	v_fmac_f32_e32 v71, v48, v19
	v_fma_f32 v24, v51, v17, -v72
	v_fma_f32 v45, v49, v19, -v74
	v_dual_add_f32 v46, v21, v22 :: v_dual_add_f32 v51, v27, v29
	s_delay_alu instid0(VALU_DEP_4)
	v_sub_f32_e32 v61, v64, v71
	v_dual_sub_f32 v55, v60, v62 :: v_dual_add_f32 v32, v25, v21
	v_add_f32_e32 v49, v56, v58
	v_dual_sub_f32 v47, v56, v58 :: v_dual_add_f32 v48, v26, v56
	v_add_f32_e32 v57, v60, v62
	v_dual_add_f32 v52, v29, v30 :: v_dual_sub_f32 v89, v24, v45
	v_add_co_u32 v53, s1, s2, v86
	v_dual_sub_f32 v50, v21, v22 :: v_dual_add_f32 v63, v42, v64
	v_dual_add_f32 v56, v28, v60 :: v_dual_sub_f32 v59, v29, v30
	v_dual_add_f32 v29, v41, v23 :: v_dual_add_f32 v72, v43, v24
	v_dual_add_f32 v60, v23, v31 :: v_dual_add_f32 v21, v32, v22
	v_add_f32_e32 v64, v64, v71
	v_add_co_ci_u32_e64 v54, null, s3, 0, s1
	v_sub_f32_e32 v70, v23, v31
	v_dual_add_f32 v74, v24, v45 :: v_dual_sub_f32 v87, v73, v75
	v_dual_add_f32 v88, v44, v73 :: v_dual_add_f32 v73, v73, v75
	v_fma_f32 v23, -0.5, v46, v25
	v_fma_f32 v24, -0.5, v49, v26
	;; [unrolled: 1-line block ×3, first 2 shown]
	v_fmac_f32_e32 v28, -0.5, v57
	v_add_co_u32 v53, s1, v53, v76
	v_dual_add_f32 v22, v48, v58 :: v_dual_add_f32 v29, v29, v31
	v_add_f32_e32 v25, v51, v30
	v_fma_f32 v31, -0.5, v60, v41
	v_fma_f32 v32, -0.5, v64, v42
	s_wait_alu 0xf1ff
	v_add_co_ci_u32_e64 v54, s1, 0, v54, s1
	v_add_f32_e32 v26, v56, v62
	v_add_f32_e32 v41, v72, v45
	v_fmamk_f32 v45, v47, 0x3f5db3d7, v23
	v_fma_f32 v43, -0.5, v74, v43
	v_fmac_f32_e32 v44, -0.5, v73
	v_dual_fmamk_f32 v46, v50, 0xbf5db3d7, v24 :: v_dual_fmac_f32 v23, 0xbf5db3d7, v47
	s_delay_alu instid0(VALU_DEP_3)
	v_dual_fmac_f32 v24, 0x3f5db3d7, v50 :: v_dual_fmamk_f32 v51, v87, 0x3f5db3d7, v43
	v_dual_add_f32 v30, v63, v71 :: v_dual_fmamk_f32 v49, v61, 0x3f5db3d7, v31
	v_dual_add_f32 v42, v88, v75 :: v_dual_fmamk_f32 v47, v55, 0x3f5db3d7, v27
	v_dual_fmamk_f32 v48, v59, 0xbf5db3d7, v28 :: v_dual_fmac_f32 v43, 0xbf5db3d7, v87
	v_fmac_f32_e32 v27, 0xbf5db3d7, v55
	v_fmac_f32_e32 v28, 0x3f5db3d7, v59
	v_dual_fmac_f32 v31, 0xbf5db3d7, v61 :: v_dual_fmamk_f32 v50, v70, 0xbf5db3d7, v32
	v_fmac_f32_e32 v32, 0x3f5db3d7, v70
	v_fmamk_f32 v52, v89, 0xbf5db3d7, v44
	v_fmac_f32_e32 v44, 0x3f5db3d7, v89
	ds_store_2addr_stride64_b64 v76, v[21:22], v[45:46] offset1:8
	ds_store_2addr_stride64_b64 v76, v[23:24], v[25:26] offset0:16 offset1:24
	ds_store_2addr_stride64_b64 v76, v[47:48], v[29:30] offset0:32 offset1:48
	ds_store_b64 v79, v[27:28]
	ds_store_b64 v77, v[49:50]
	ds_store_2addr_stride64_b64 v76, v[31:32], v[41:42] offset0:64 offset1:72
	ds_store_b64 v76, v[51:52] offset:40960
	ds_store_b64 v78, v[43:44]
	global_wb scope:SCOPE_SE
	s_wait_dscnt 0x0
	s_barrier_signal -1
	s_barrier_wait -1
	global_inv scope:SCOPE_SE
	s_clause 0x5
	global_load_b128 v[21:24], v[53:54], off offset:12160
	global_load_b64 v[74:75], v[53:54], off offset:12176
	global_load_b128 v[25:28], v[53:54], off offset:24448
	global_load_b64 v[72:73], v[53:54], off offset:24464
	;; [unrolled: 2-line block ×3, first 2 shown]
	ds_load_2addr_stride64_b64 v[41:44], v76 offset0:16 offset1:24
	ds_load_2addr_stride64_b64 v[45:48], v76 offset0:32 offset1:48
	ds_load_2addr_stride64_b64 v[49:52], v76 offset0:64 offset1:72
	ds_load_b64 v[57:58], v77
	ds_load_b64 v[59:60], v76 offset:40960
	ds_load_b64 v[61:62], v79
	ds_load_b64 v[63:64], v78
	ds_load_2addr_stride64_b64 v[53:56], v76 offset1:8
	s_wait_loadcnt_dscnt 0x506
	v_dual_mul_f32 v90, v47, v24 :: v_dual_mul_f32 v87, v44, v22
	s_wait_loadcnt_dscnt 0x304
	v_dual_mul_f32 v94, v45, v26 :: v_dual_mul_f32 v95, v58, v28
	;; [unrolled: 2-line block ×3, first 2 shown]
	v_mul_f32_e32 v89, v48, v24
	v_mul_f32_e32 v91, v52, v75
	s_wait_loadcnt 0x1
	v_dual_mul_f32 v92, v51, v75 :: v_dual_mul_f32 v101, v50, v32
	v_mul_f32_e32 v93, v46, v26
	s_wait_dscnt 0x2
	v_mul_f32_e32 v99, v62, v30
	s_wait_loadcnt_dscnt 0x1
	v_mul_f32_e32 v103, v64, v71
	v_fmac_f32_e32 v90, v48, v23
	v_mul_f32_e32 v96, v57, v28
	v_fmac_f32_e32 v94, v46, v25
	v_fma_f32 v46, v57, v27, -v95
	v_fma_f32 v43, v43, v21, -v87
	v_fmac_f32_e32 v92, v52, v74
	s_wait_dscnt 0x0
	v_sub_f32_e32 v57, v54, v90
	v_fmac_f32_e32 v96, v58, v27
	v_sub_f32_e32 v58, v55, v46
	v_fmac_f32_e32 v88, v44, v21
	v_fma_f32 v44, v47, v23, -v89
	v_fma_f32 v47, v51, v74, -v91
	v_mul_f32_e32 v98, v59, v73
	v_fma_f32 v51, v61, v29, -v99
	v_dual_mul_f32 v100, v61, v30 :: v_dual_sub_f32 v61, v56, v96
	v_sub_f32_e32 v52, v53, v44
	v_dual_sub_f32 v44, v43, v47 :: v_dual_sub_f32 v47, v88, v92
	v_mul_f32_e32 v102, v49, v32
	v_fma_f32 v49, v49, v31, -v101
	v_mul_f32_e32 v104, v63, v71
	v_fma_f32 v45, v45, v25, -v93
	v_fma_f32 v48, v59, v72, -v97
	s_delay_alu instid0(VALU_DEP_4)
	v_dual_fmac_f32 v102, v50, v31 :: v_dual_sub_f32 v49, v41, v49
	v_fma_f32 v50, v63, v70, -v103
	v_fmac_f32_e32 v104, v64, v70
	v_fma_f32 v53, v53, 2.0, -v52
	v_fma_f32 v63, v43, 2.0, -v44
	v_fmac_f32_e32 v98, v60, v72
	v_dual_sub_f32 v50, v51, v50 :: v_dual_sub_f32 v43, v52, v47
	v_add_f32_e32 v44, v57, v44
	v_fma_f32 v89, v41, 2.0, -v49
	v_sub_f32_e32 v41, v53, v63
	s_delay_alu instid0(VALU_DEP_4)
	v_fma_f32 v91, v51, 2.0, -v50
	v_fmac_f32_e32 v100, v62, v29
	v_sub_f32_e32 v46, v45, v48
	v_sub_f32_e32 v62, v42, v102
	v_fma_f32 v54, v54, 2.0, -v57
	v_fma_f32 v51, v52, 2.0, -v43
	;; [unrolled: 1-line block ×3, first 2 shown]
	v_sub_f32_e32 v57, v89, v91
	v_dual_sub_f32 v59, v100, v104 :: v_dual_sub_f32 v48, v94, v98
	v_fma_f32 v64, v88, 2.0, -v47
	v_fma_f32 v87, v55, 2.0, -v58
	;; [unrolled: 1-line block ×5, first 2 shown]
	v_sub_f32_e32 v47, v58, v48
	v_fma_f32 v90, v42, 2.0, -v62
	v_fma_f32 v92, v100, 2.0, -v59
	v_add_f32_e32 v48, v61, v46
	v_dual_sub_f32 v59, v49, v59 :: v_dual_add_f32 v60, v62, v50
	v_dual_sub_f32 v42, v54, v64 :: v_dual_sub_f32 v45, v87, v45
	v_sub_f32_e32 v46, v88, v55
	v_fma_f32 v55, v58, 2.0, -v47
	v_sub_f32_e32 v58, v90, v92
	v_fma_f32 v56, v61, 2.0, -v48
	v_fma_f32 v63, v49, 2.0, -v59
	;; [unrolled: 1-line block ×9, first 2 shown]
	ds_store_2addr_stride64_b64 v76, v[55:56], v[41:42] offset0:32 offset1:48
	ds_store_b64 v77, v[45:46]
	ds_store_b64 v79, v[63:64]
	ds_store_2addr_stride64_b64 v76, v[57:58], v[43:44] offset0:64 offset1:72
	ds_store_b64 v76, v[47:48] offset:40960
	ds_store_b64 v78, v[59:60]
	ds_store_2addr_stride64_b64 v76, v[49:50], v[53:54] offset1:8
	ds_store_2addr_stride64_b64 v76, v[61:62], v[51:52] offset0:16 offset1:24
	global_wb scope:SCOPE_SE
	s_wait_dscnt 0x0
	s_barrier_signal -1
	s_barrier_wait -1
	global_inv scope:SCOPE_SE
	s_and_saveexec_b32 s1, vcc_lo
	s_cbranch_execz .LBB0_13
; %bb.12:
	s_add_nc_u64 s[2:3], s[8:9], 0xc000
	s_clause 0xf
	global_load_b64 v[119:120], v76, s[8:9] offset:49152
	global_load_b64 v[121:122], v76, s[2:3] offset:3072
	;; [unrolled: 1-line block ×16, first 2 shown]
	ds_load_2addr_stride64_b64 v[87:90], v76 offset1:6
	ds_load_2addr_stride64_b64 v[91:94], v76 offset0:12 offset1:18
	ds_load_2addr_stride64_b64 v[95:98], v76 offset0:24 offset1:30
	;; [unrolled: 1-line block ×7, first 2 shown]
	s_wait_loadcnt_dscnt 0xe07
	v_dual_mul_f32 v152, v88, v120 :: v_dual_mul_f32 v153, v90, v122
	v_dual_mul_f32 v151, v87, v120 :: v_dual_mul_f32 v120, v89, v122
	s_wait_loadcnt_dscnt 0xc06
	v_dual_mul_f32 v154, v92, v124 :: v_dual_mul_f32 v155, v94, v126
	s_wait_loadcnt_dscnt 0xa05
	v_dual_mul_f32 v122, v91, v124 :: v_dual_mul_f32 v157, v98, v130
	v_dual_mul_f32 v124, v93, v126 :: v_dual_fmac_f32 v151, v88, v119
	s_wait_loadcnt_dscnt 0x804
	v_dual_mul_f32 v156, v96, v128 :: v_dual_mul_f32 v159, v102, v134
	s_wait_loadcnt_dscnt 0x603
	v_dual_mul_f32 v126, v95, v128 :: v_dual_mul_f32 v161, v106, v138
	v_mul_f32_e32 v128, v97, v130
	s_wait_loadcnt_dscnt 0x402
	v_dual_mul_f32 v158, v100, v132 :: v_dual_mul_f32 v163, v110, v142
	s_wait_loadcnt_dscnt 0x201
	v_dual_mul_f32 v130, v99, v132 :: v_dual_mul_f32 v165, v114, v146
	v_mul_f32_e32 v132, v101, v134
	s_wait_loadcnt_dscnt 0x0
	v_dual_mul_f32 v160, v104, v136 :: v_dual_mul_f32 v167, v118, v150
	v_mul_f32_e32 v134, v103, v136
	v_mul_f32_e32 v136, v105, v138
	;; [unrolled: 1-line block ×11, first 2 shown]
	v_fma_f32 v150, v87, v119, -v152
	v_fma_f32 v119, v89, v121, -v153
	v_fmac_f32_e32 v120, v90, v121
	v_fma_f32 v121, v91, v123, -v154
	v_fmac_f32_e32 v122, v92, v123
	;; [unrolled: 2-line block ×15, first 2 shown]
	ds_store_2addr_stride64_b64 v76, v[150:151], v[119:120] offset1:6
	ds_store_2addr_stride64_b64 v76, v[121:122], v[123:124] offset0:12 offset1:18
	ds_store_2addr_stride64_b64 v76, v[125:126], v[127:128] offset0:24 offset1:30
	;; [unrolled: 1-line block ×7, first 2 shown]
.LBB0_13:
	s_wait_alu 0xfffe
	s_or_b32 exec_lo, exec_lo, s1
	global_wb scope:SCOPE_SE
	s_wait_dscnt 0x0
	s_barrier_signal -1
	s_barrier_wait -1
	global_inv scope:SCOPE_SE
	s_and_saveexec_b32 s1, vcc_lo
	s_cbranch_execz .LBB0_15
; %bb.14:
	ds_load_2addr_stride64_b64 v[49:52], v76 offset1:6
	ds_load_2addr_stride64_b64 v[41:44], v76 offset0:12 offset1:18
	ds_load_2addr_stride64_b64 v[53:56], v76 offset0:24 offset1:30
	;; [unrolled: 1-line block ×7, first 2 shown]
.LBB0_15:
	s_wait_alu 0xfffe
	s_or_b32 exec_lo, exec_lo, s1
	s_wait_dscnt 0x3
	v_dual_sub_f32 v61, v49, v61 :: v_dual_sub_f32 v62, v50, v62
	s_wait_dscnt 0x1
	v_dual_sub_f32 v37, v53, v37 :: v_dual_sub_f32 v38, v54, v38
	v_dual_sub_f32 v88, v41, v57 :: v_dual_sub_f32 v89, v42, v58
	s_wait_dscnt 0x0
	v_dual_sub_f32 v33, v45, v33 :: v_dual_sub_f32 v34, v46, v34
	v_fma_f32 v87, v49, 2.0, -v61
	v_fma_f32 v50, v50, 2.0, -v62
	;; [unrolled: 1-line block ×7, first 2 shown]
	v_sub_f32_e32 v90, v51, v63
	v_dual_sub_f32 v64, v52, v64 :: v_dual_sub_f32 v39, v55, v39
	v_fma_f32 v46, v46, 2.0, -v34
	v_dual_sub_f32 v40, v56, v40 :: v_dual_sub_f32 v59, v43, v59
	s_delay_alu instid0(VALU_DEP_3) | instskip(NEXT) | instid1(VALU_DEP_4)
	v_fma_f32 v63, v52, 2.0, -v64
	v_fma_f32 v55, v55, 2.0, -v39
	v_dual_sub_f32 v60, v44, v60 :: v_dual_sub_f32 v35, v47, v35
	s_delay_alu instid0(VALU_DEP_4)
	v_fma_f32 v56, v56, 2.0, -v40
	v_dual_sub_f32 v36, v48, v36 :: v_dual_sub_f32 v57, v62, v37
	v_sub_f32_e32 v42, v87, v49
	v_sub_f32_e32 v49, v50, v53
	v_fma_f32 v51, v51, 2.0, -v90
	v_add_f32_e32 v52, v38, v61
	v_sub_f32_e32 v37, v54, v45
	v_dual_sub_f32 v38, v58, v46 :: v_dual_sub_f32 v33, v89, v33
	v_fma_f32 v91, v43, 2.0, -v59
	v_fma_f32 v93, v47, 2.0, -v35
	;; [unrolled: 1-line block ×4, first 2 shown]
	v_add_f32_e32 v34, v34, v88
	v_fma_f32 v54, v58, 2.0, -v38
	v_sub_f32_e32 v58, v63, v56
	v_fma_f32 v92, v44, 2.0, -v60
	v_fma_f32 v48, v48, 2.0, -v36
	v_fma_f32 v47, v62, 2.0, -v57
	v_sub_f32_e32 v53, v51, v55
	v_fma_f32 v44, v61, 2.0, -v52
	v_fma_f32 v46, v63, 2.0, -v58
	v_sub_f32_e32 v63, v64, v39
	v_sub_f32_e32 v39, v91, v93
	v_fma_f32 v41, v87, 2.0, -v42
	v_fma_f32 v61, v88, 2.0, -v34
	v_add_f32_e32 v62, v40, v90
	v_add_f32_e32 v36, v36, v59
	v_sub_f32_e32 v35, v60, v35
	v_fma_f32 v40, v89, 2.0, -v33
	v_fma_f32 v45, v51, 2.0, -v53
	v_dual_sub_f32 v95, v92, v48 :: v_dual_fmamk_f32 v56, v61, 0xbf3504f3, v44
	v_fma_f32 v55, v64, 2.0, -v63
	v_fma_f32 v94, v59, 2.0, -v36
	v_sub_f32_e32 v48, v41, v50
	v_fma_f32 v93, v60, 2.0, -v35
	v_fmamk_f32 v89, v34, 0x3f3504f3, v52
	v_fma_f32 v51, v90, 2.0, -v62
	v_fma_f32 v91, v91, 2.0, -v39
	v_dual_fmamk_f32 v59, v40, 0xbf3504f3, v47 :: v_dual_sub_f32 v54, v43, v54
	v_dual_add_f32 v50, v38, v42 :: v_dual_fmamk_f32 v87, v93, 0xbf3504f3, v55
	s_delay_alu instid0(VALU_DEP_4) | instskip(SKIP_1) | instid1(VALU_DEP_4)
	v_fmamk_f32 v64, v94, 0xbf3504f3, v51
	v_fma_f32 v92, v92, 2.0, -v95
	v_fmac_f32_e32 v59, 0xbf3504f3, v61
	v_fmamk_f32 v90, v33, 0x3f3504f3, v57
	v_sub_f32_e32 v88, v49, v37
	v_dual_sub_f32 v60, v45, v91 :: v_dual_fmac_f32 v87, 0xbf3504f3, v94
	v_fmamk_f32 v94, v35, 0x3f3504f3, v63
	v_add_f32_e32 v91, v95, v53
	v_fmac_f32_e32 v64, 0x3f3504f3, v93
	v_fmamk_f32 v93, v36, 0x3f3504f3, v62
	v_dual_fmac_f32 v56, 0x3f3504f3, v40 :: v_dual_fmac_f32 v89, 0x3f3504f3, v33
	v_dual_sub_f32 v61, v46, v92 :: v_dual_fmac_f32 v90, 0xbf3504f3, v34
	v_sub_f32_e32 v92, v58, v39
	s_delay_alu instid0(VALU_DEP_4) | instskip(NEXT) | instid1(VALU_DEP_4)
	v_fmac_f32_e32 v93, 0x3f3504f3, v35
	v_fmamk_f32 v35, v64, 0x3ec3ef15, v56
	v_fmac_f32_e32 v94, 0xbf3504f3, v36
	v_dual_add_f32 v33, v61, v48 :: v_dual_fmamk_f32 v36, v87, 0x3ec3ef15, v59
	v_fmamk_f32 v37, v91, 0x3f3504f3, v50
	v_fmamk_f32 v38, v92, 0x3f3504f3, v88
	s_delay_alu instid0(VALU_DEP_4)
	v_dual_fmamk_f32 v39, v93, 0x3f6c835e, v89 :: v_dual_fmamk_f32 v40, v94, 0x3f6c835e, v90
	v_dual_sub_f32 v34, v54, v60 :: v_dual_fmac_f32 v35, 0x3f6c835e, v87
	v_fmac_f32_e32 v36, 0xbf6c835e, v64
	v_fmac_f32_e32 v37, 0x3f3504f3, v92
	;; [unrolled: 1-line block ×5, first 2 shown]
	global_wb scope:SCOPE_SE
	s_barrier_signal -1
	s_barrier_wait -1
	global_inv scope:SCOPE_SE
	s_and_saveexec_b32 s1, vcc_lo
	s_cbranch_execz .LBB0_17
; %bb.16:
	v_fma_f32 v49, v49, 2.0, -v88
	v_fma_f32 v58, v58, 2.0, -v92
	;; [unrolled: 1-line block ×6, first 2 shown]
	v_fmamk_f32 v88, v58, 0xbf3504f3, v49
	v_fma_f32 v63, v63, 2.0, -v94
	v_fma_f32 v52, v52, 2.0, -v89
	;; [unrolled: 1-line block ×5, first 2 shown]
	v_dual_fmac_f32 v88, 0xbf3504f3, v53 :: v_dual_lshlrev_b32 v45, 3, v86
	v_fma_f32 v95, v90, 2.0, -v40
	v_fma_f32 v94, v89, 2.0, -v39
	v_dual_fmamk_f32 v90, v63, 0xbec3ef15, v57 :: v_dual_fmamk_f32 v89, v62, 0xbec3ef15, v52
	v_fma_f32 v99, v59, 2.0, -v36
	v_fma_f32 v47, v47, 2.0, -v59
	v_fma_f32 v59, v55, 2.0, -v87
	v_fma_f32 v55, v49, 2.0, -v88
	v_fma_f32 v49, v42, 2.0, -v50
	v_fmac_f32_e32 v90, 0xbf6c835e, v62
	v_fma_f32 v42, v43, 2.0, -v54
	v_fma_f32 v43, v46, 2.0, -v61
	v_fmamk_f32 v62, v51, 0xbf6c835e, v64
	v_fma_f32 v41, v41, 2.0, -v48
	v_fmac_f32_e32 v89, 0x3f6c835e, v63
	v_fmamk_f32 v63, v59, 0xbf6c835e, v47
	v_fmamk_f32 v87, v53, 0xbf3504f3, v49
	s_delay_alu instid0(VALU_DEP_4) | instskip(SKIP_1) | instid1(VALU_DEP_4)
	v_dual_sub_f32 v61, v42, v43 :: v_dual_sub_f32 v60, v41, v44
	v_fmac_f32_e32 v62, 0x3ec3ef15, v59
	v_fmac_f32_e32 v63, 0xbec3ef15, v51
	s_delay_alu instid0(VALU_DEP_4) | instskip(NEXT) | instid1(VALU_DEP_4)
	v_fmac_f32_e32 v87, 0x3f3504f3, v58
	v_fma_f32 v42, v42, 2.0, -v61
	v_fma_f32 v41, v41, 2.0, -v60
	;; [unrolled: 1-line block ×11, first 2 shown]
	ds_store_b128 v45, v[41:44]
	ds_store_b128 v45, v[54:57] offset:16
	ds_store_b128 v45, v[96:99] offset:32
	;; [unrolled: 1-line block ×7, first 2 shown]
.LBB0_17:
	s_wait_alu 0xfffe
	s_or_b32 exec_lo, exec_lo, s1
	global_wb scope:SCOPE_SE
	s_wait_dscnt 0x0
	s_barrier_signal -1
	s_barrier_wait -1
	global_inv scope:SCOPE_SE
	ds_load_2addr_stride64_b64 v[41:44], v76 offset0:16 offset1:24
	ds_load_2addr_stride64_b64 v[45:48], v76 offset0:32 offset1:48
	;; [unrolled: 1-line block ×3, first 2 shown]
	ds_load_b64 v[57:58], v77
	ds_load_b64 v[59:60], v76 offset:40960
	ds_load_2addr_stride64_b64 v[53:56], v76 offset1:8
	ds_load_b64 v[61:62], v79
	ds_load_b64 v[63:64], v78
	global_wb scope:SCOPE_SE
	s_wait_dscnt 0x0
	s_barrier_signal -1
	s_barrier_wait -1
	global_inv scope:SCOPE_SE
	v_dual_mul_f32 v86, v14, v44 :: v_dual_mul_f32 v89, v16, v47
	v_dual_mul_f32 v87, v14, v43 :: v_dual_mul_f32 v88, v16, v48
	v_dual_mul_f32 v90, v69, v52 :: v_dual_mul_f32 v93, v14, v45
	v_dual_mul_f32 v91, v69, v51 :: v_dual_mul_f32 v92, v14, v46
	s_delay_alu instid0(VALU_DEP_4) | instskip(NEXT) | instid1(VALU_DEP_4)
	v_fmac_f32_e32 v86, v13, v43
	v_fma_f32 v43, v13, v44, -v87
	v_fma_f32 v44, v15, v48, -v89
	v_fmac_f32_e32 v90, v68, v51
	v_mul_f32_e32 v48, v16, v58
	v_dual_mul_f32 v51, v16, v57 :: v_dual_fmac_f32 v88, v15, v47
	v_fma_f32 v47, v68, v52, -v91
	v_fma_f32 v87, v13, v46, -v93
	v_mul_f32_e32 v52, v69, v60
	s_delay_alu instid0(VALU_DEP_4)
	v_fma_f32 v51, v15, v58, -v51
	v_fmac_f32_e32 v92, v13, v45
	v_dual_mul_f32 v45, v69, v59 :: v_dual_fmac_f32 v48, v15, v57
	v_mul_f32_e32 v58, v14, v62
	v_dual_mul_f32 v14, v14, v61 :: v_dual_mul_f32 v57, v16, v50
	v_mul_f32_e32 v16, v16, v49
	v_mul_f32_e32 v46, v69, v63
	s_delay_alu instid0(VALU_DEP_4) | instskip(NEXT) | instid1(VALU_DEP_4)
	v_fmac_f32_e32 v58, v13, v61
	v_fma_f32 v13, v13, v62, -v14
	v_fmac_f32_e32 v57, v15, v49
	v_fma_f32 v14, v15, v50, -v16
	v_sub_f32_e32 v15, v53, v88
	v_dual_sub_f32 v44, v54, v44 :: v_dual_sub_f32 v49, v43, v47
	v_sub_f32_e32 v16, v86, v90
	v_fma_f32 v61, v68, v64, -v46
	s_delay_alu instid0(VALU_DEP_4)
	v_fma_f32 v47, v53, 2.0, -v15
	v_fmac_f32_e32 v52, v68, v59
	v_fma_f32 v59, v68, v60, -v45
	v_mul_f32_e32 v60, v69, v64
	v_fma_f32 v53, v54, 2.0, -v44
	v_fma_f32 v43, v43, 2.0, -v49
	v_add_f32_e32 v49, v15, v49
	v_fma_f32 v45, v86, 2.0, -v16
	v_fmac_f32_e32 v60, v68, v63
	v_sub_f32_e32 v62, v55, v48
	v_sub_f32_e32 v46, v53, v43
	;; [unrolled: 1-line block ×5, first 2 shown]
	v_fma_f32 v55, v55, 2.0, -v62
	v_dual_sub_f32 v59, v87, v59 :: v_dual_sub_f32 v64, v42, v14
	s_delay_alu instid0(VALU_DEP_4) | instskip(NEXT) | instid1(VALU_DEP_4)
	v_fma_f32 v47, v47, 2.0, -v45
	v_fma_f32 v48, v92, 2.0, -v43
	s_delay_alu instid0(VALU_DEP_3) | instskip(NEXT) | instid1(VALU_DEP_4)
	v_fma_f32 v52, v87, 2.0, -v59
	v_fma_f32 v68, v42, 2.0, -v64
	s_delay_alu instid0(VALU_DEP_3)
	v_sub_f32_e32 v51, v55, v48
	v_fma_f32 v48, v53, 2.0, -v46
	v_fma_f32 v53, v15, 2.0, -v49
	v_dual_sub_f32 v15, v41, v57 :: v_dual_sub_f32 v50, v44, v16
	v_add_f32_e32 v57, v62, v59
	v_sub_f32_e32 v14, v58, v60
	v_fma_f32 v16, v56, 2.0, -v63
	v_fma_f32 v55, v55, 2.0, -v51
	;; [unrolled: 1-line block ×3, first 2 shown]
	v_sub_f32_e32 v44, v13, v61
	v_fma_f32 v61, v41, 2.0, -v15
	v_fma_f32 v41, v58, 2.0, -v14
	v_sub_f32_e32 v52, v16, v52
	v_sub_f32_e32 v58, v63, v43
	v_fma_f32 v13, v13, 2.0, -v44
	v_add_f32_e32 v43, v15, v44
	v_dual_sub_f32 v41, v61, v41 :: v_dual_sub_f32 v44, v64, v14
	v_fma_f32 v56, v16, 2.0, -v52
	s_delay_alu instid0(VALU_DEP_4)
	v_sub_f32_e32 v42, v68, v13
	v_fma_f32 v59, v62, 2.0, -v57
	v_fma_f32 v60, v63, 2.0, -v58
	;; [unrolled: 1-line block ×6, first 2 shown]
	ds_store_2addr_b64 v83, v[47:48], v[53:54] offset1:16
	ds_store_2addr_b64 v83, v[45:46], v[49:50] offset0:32 offset1:48
	ds_store_2addr_b64 v82, v[55:56], v[59:60] offset1:16
	ds_store_2addr_b64 v82, v[51:52], v[57:58] offset0:32 offset1:48
	;; [unrolled: 2-line block ×3, first 2 shown]
	global_wb scope:SCOPE_SE
	s_wait_dscnt 0x0
	s_barrier_signal -1
	s_barrier_wait -1
	global_inv scope:SCOPE_SE
	ds_load_2addr_stride64_b64 v[45:48], v76 offset1:12
	ds_load_2addr_stride64_b64 v[57:60], v76 offset0:24 offset1:36
	ds_load_2addr_stride64_b64 v[53:56], v76 offset0:48 offset1:60
	;; [unrolled: 1-line block ×3, first 2 shown]
	s_and_saveexec_b32 s1, s0
	s_cbranch_execz .LBB0_19
; %bb.18:
	ds_load_2addr_stride64_b64 v[35:38], v76 offset0:68 offset1:80
	ds_load_2addr_stride64_b64 v[13:16], v76 offset0:8 offset1:20
	;; [unrolled: 1-line block ×3, first 2 shown]
	ds_load_b64 v[33:34], v77
	ds_load_b64 v[39:40], v76 offset:47104
.LBB0_19:
	s_wait_alu 0xfffe
	s_or_b32 exec_lo, exec_lo, s1
	s_wait_dscnt 0x2
	v_dual_mul_f32 v61, v6, v48 :: v_dual_mul_f32 v64, v8, v57
	v_dual_mul_f32 v62, v6, v47 :: v_dual_mul_f32 v63, v8, v58
	s_delay_alu instid0(VALU_DEP_2)
	v_dual_mul_f32 v68, v2, v60 :: v_dual_fmac_f32 v61, v5, v47
	global_wb scope:SCOPE_SE
	s_wait_dscnt 0x0
	v_fma_f32 v47, v5, v48, -v62
	v_dual_fmac_f32 v63, v7, v57 :: v_dual_fmac_f32 v68, v1, v59
	v_fma_f32 v48, v7, v58, -v64
	v_dual_mul_f32 v57, v2, v59 :: v_dual_mul_f32 v58, v4, v54
	v_dual_mul_f32 v59, v4, v53 :: v_dual_mul_f32 v62, v10, v56
	s_barrier_signal -1
	s_delay_alu instid0(VALU_DEP_2)
	v_fma_f32 v57, v1, v60, -v57
	v_mul_f32_e32 v60, v10, v55
	v_fmac_f32_e32 v58, v3, v53
	v_fma_f32 v53, v3, v54, -v59
	v_dual_mul_f32 v59, v67, v52 :: v_dual_mul_f32 v54, v12, v50
	s_barrier_wait -1
	global_inv scope:SCOPE_SE
	v_dual_fmac_f32 v59, v66, v51 :: v_dual_fmac_f32 v54, v11, v49
	s_delay_alu instid0(VALU_DEP_1) | instskip(SKIP_3) | instid1(VALU_DEP_2)
	v_sub_f32_e32 v59, v68, v59
	v_fmac_f32_e32 v62, v9, v55
	v_fma_f32 v55, v9, v56, -v60
	v_dual_mul_f32 v56, v12, v49 :: v_dual_sub_f32 v49, v45, v58
	v_sub_f32_e32 v55, v47, v55
	s_delay_alu instid0(VALU_DEP_2) | instskip(NEXT) | instid1(VALU_DEP_3)
	v_fma_f32 v50, v11, v50, -v56
	v_fma_f32 v45, v45, 2.0, -v49
	s_delay_alu instid0(VALU_DEP_3) | instskip(NEXT) | instid1(VALU_DEP_3)
	v_fma_f32 v47, v47, 2.0, -v55
	v_sub_f32_e32 v50, v48, v50
	s_delay_alu instid0(VALU_DEP_1) | instskip(SKIP_1) | instid1(VALU_DEP_1)
	v_fma_f32 v48, v48, 2.0, -v50
	v_mul_f32_e32 v60, v67, v51
	v_fma_f32 v51, v66, v52, -v60
	v_dual_sub_f32 v52, v46, v53 :: v_dual_sub_f32 v53, v63, v54
	s_delay_alu instid0(VALU_DEP_2) | instskip(SKIP_1) | instid1(VALU_DEP_3)
	v_sub_f32_e32 v51, v57, v51
	v_sub_f32_e32 v54, v61, v62
	v_fma_f32 v46, v46, 2.0, -v52
	s_delay_alu instid0(VALU_DEP_4) | instskip(SKIP_1) | instid1(VALU_DEP_4)
	v_fma_f32 v56, v63, 2.0, -v53
	v_sub_f32_e32 v63, v52, v53
	v_fma_f32 v58, v61, 2.0, -v54
	s_delay_alu instid0(VALU_DEP_4)
	v_sub_f32_e32 v61, v46, v48
	v_fma_f32 v48, v68, 2.0, -v59
	v_dual_sub_f32 v59, v55, v59 :: v_dual_add_f32 v62, v49, v50
	v_fma_f32 v50, v57, 2.0, -v51
	v_sub_f32_e32 v60, v45, v56
	v_fma_f32 v81, v52, 2.0, -v63
	v_fma_f32 v57, v46, 2.0, -v61
	v_fmamk_f32 v52, v59, 0x3f3504f3, v63
	v_sub_f32_e32 v69, v47, v50
	v_fma_f32 v50, v55, 2.0, -v59
	v_add_f32_e32 v68, v54, v51
	v_fma_f32 v56, v45, 2.0, -v60
	s_delay_alu instid0(VALU_DEP_4) | instskip(SKIP_1) | instid1(VALU_DEP_4)
	v_fma_f32 v46, v47, 2.0, -v69
	v_add_f32_e32 v55, v60, v69
	v_fma_f32 v51, v54, 2.0, -v68
	v_sub_f32_e32 v64, v58, v48
	v_fmamk_f32 v48, v50, 0xbf3504f3, v81
	s_delay_alu instid0(VALU_DEP_2) | instskip(NEXT) | instid1(VALU_DEP_1)
	v_fma_f32 v45, v58, 2.0, -v64
	v_dual_fmac_f32 v48, 0xbf3504f3, v51 :: v_dual_sub_f32 v45, v56, v45
	v_fma_f32 v53, v49, 2.0, -v62
	s_delay_alu instid0(VALU_DEP_2) | instskip(NEXT) | instid1(VALU_DEP_3)
	v_fma_f32 v54, v81, 2.0, -v48
	v_fma_f32 v49, v56, 2.0, -v45
	s_delay_alu instid0(VALU_DEP_3) | instskip(NEXT) | instid1(VALU_DEP_1)
	v_fmamk_f32 v47, v51, 0xbf3504f3, v53
	v_fmac_f32_e32 v47, 0x3f3504f3, v50
	v_dual_sub_f32 v46, v57, v46 :: v_dual_fmamk_f32 v51, v68, 0x3f3504f3, v62
	v_sub_f32_e32 v56, v61, v64
	v_fmac_f32_e32 v52, 0xbf3504f3, v68
	s_delay_alu instid0(VALU_DEP_4) | instskip(NEXT) | instid1(VALU_DEP_4)
	v_fma_f32 v53, v53, 2.0, -v47
	v_fma_f32 v50, v57, 2.0, -v46
	v_fmac_f32_e32 v51, 0x3f3504f3, v59
	v_fma_f32 v57, v60, 2.0, -v55
	v_fma_f32 v58, v61, 2.0, -v56
	;; [unrolled: 1-line block ×3, first 2 shown]
	s_delay_alu instid0(VALU_DEP_4)
	v_fma_f32 v59, v62, 2.0, -v51
	ds_store_2addr_stride64_b64 v85, v[49:50], v[53:54] offset1:1
	ds_store_2addr_stride64_b64 v85, v[57:58], v[59:60] offset0:2 offset1:3
	ds_store_2addr_stride64_b64 v85, v[45:46], v[47:48] offset0:4 offset1:5
	ds_store_2addr_stride64_b64 v85, v[55:56], v[51:52] offset0:6 offset1:7
	s_and_saveexec_b32 s1, s0
	s_cbranch_execz .LBB0_21
; %bb.20:
	v_dual_mul_f32 v45, v4, v33 :: v_dual_mul_f32 v48, v6, v15
	v_mul_f32_e32 v47, v12, v38
	v_dual_mul_f32 v46, v8, v42 :: v_dual_mul_f32 v49, v10, v35
	v_mul_f32_e32 v8, v8, v41
	s_delay_alu instid0(VALU_DEP_4) | instskip(NEXT) | instid1(VALU_DEP_4)
	v_fma_f32 v45, v3, v34, -v45
	v_fmac_f32_e32 v47, v11, v37
	s_delay_alu instid0(VALU_DEP_4)
	v_fmac_f32_e32 v46, v7, v41
	v_fma_f32 v48, v5, v16, -v48
	v_fma_f32 v49, v9, v36, -v49
	v_mul_f32_e32 v50, v2, v44
	v_dual_mul_f32 v51, v67, v40 :: v_dual_mul_f32 v2, v2, v43
	v_dual_sub_f32 v45, v14, v45 :: v_dual_mul_f32 v52, v67, v39
	v_sub_f32_e32 v47, v46, v47
	s_delay_alu instid0(VALU_DEP_3) | instskip(NEXT) | instid1(VALU_DEP_4)
	v_dual_fmac_f32 v51, v66, v39 :: v_dual_mul_f32 v4, v4, v34
	v_fma_f32 v39, v1, v44, -v2
	v_mul_f32_e32 v6, v6, v16
	v_mul_f32_e32 v2, v10, v36
	v_mul_f32_e32 v10, v12, v37
	v_sub_f32_e32 v49, v48, v49
	v_fma_f32 v14, v14, 2.0, -v45
	v_fmac_f32_e32 v6, v5, v15
	v_fma_f32 v5, v7, v42, -v8
	v_fma_f32 v7, v11, v38, -v10
	v_sub_f32_e32 v11, v45, v47
	v_fmac_f32_e32 v2, v9, v35
	v_fmac_f32_e32 v50, v1, v43
	v_fma_f32 v1, v66, v40, -v52
	v_sub_f32_e32 v7, v5, v7
	v_fma_f32 v34, v46, 2.0, -v47
	v_dual_sub_f32 v9, v6, v2 :: v_dual_fmac_f32 v4, v3, v33
	v_sub_f32_e32 v3, v50, v51
	v_fma_f32 v35, v48, 2.0, -v49
	v_fma_f32 v37, v45, 2.0, -v11
	s_delay_alu instid0(VALU_DEP_4) | instskip(SKIP_2) | instid1(VALU_DEP_2)
	v_sub_f32_e32 v10, v13, v4
	v_fma_f32 v4, v5, 2.0, -v7
	v_sub_f32_e32 v8, v39, v1
	v_dual_add_f32 v16, v7, v10 :: v_dual_sub_f32 v7, v14, v4
	s_delay_alu instid0(VALU_DEP_2) | instskip(SKIP_2) | instid1(VALU_DEP_3)
	v_add_f32_e32 v15, v8, v9
	v_fma_f32 v5, v6, 2.0, -v9
	v_fma_f32 v36, v39, 2.0, -v8
	v_fmamk_f32 v1, v15, 0x3f3504f3, v16
	v_fma_f32 v13, v13, 2.0, -v10
	s_delay_alu instid0(VALU_DEP_1) | instskip(SKIP_2) | instid1(VALU_DEP_2)
	v_sub_f32_e32 v34, v13, v34
	v_sub_f32_e32 v12, v49, v3
	v_fma_f32 v3, v50, 2.0, -v3
	v_fmamk_f32 v2, v12, 0x3f3504f3, v11
	v_fmac_f32_e32 v1, 0x3f3504f3, v12
	s_delay_alu instid0(VALU_DEP_3) | instskip(NEXT) | instid1(VALU_DEP_3)
	v_sub_f32_e32 v33, v5, v3
	v_fmac_f32_e32 v2, 0xbf3504f3, v15
	s_delay_alu instid0(VALU_DEP_3) | instskip(NEXT) | instid1(VALU_DEP_2)
	v_fma_f32 v3, v16, 2.0, -v1
	v_fma_f32 v4, v11, 2.0, -v2
	;; [unrolled: 1-line block ×5, first 2 shown]
	v_sub_f32_e32 v16, v35, v36
	s_delay_alu instid0(VALU_DEP_4) | instskip(NEXT) | instid1(VALU_DEP_3)
	v_fmamk_f32 v10, v11, 0xbf3504f3, v37
	v_dual_fmamk_f32 v9, v12, 0xbf3504f3, v15 :: v_dual_sub_f32 v6, v7, v33
	s_delay_alu instid0(VALU_DEP_2) | instskip(NEXT) | instid1(VALU_DEP_2)
	v_fmac_f32_e32 v10, 0xbf3504f3, v12
	v_fmac_f32_e32 v9, 0x3f3504f3, v11
	s_delay_alu instid0(VALU_DEP_3)
	v_fma_f32 v8, v7, 2.0, -v6
	v_fma_f32 v7, v14, 2.0, -v7
	;; [unrolled: 1-line block ×5, first 2 shown]
	v_and_or_b32 v33, 0x1e00, v84, v80
	s_delay_alu instid0(VALU_DEP_4) | instskip(SKIP_1) | instid1(VALU_DEP_4)
	v_sub_f32_e32 v12, v7, v14
	v_fma_f32 v14, v37, 2.0, -v10
	v_sub_f32_e32 v11, v35, v13
	s_delay_alu instid0(VALU_DEP_4) | instskip(SKIP_4) | instid1(VALU_DEP_4)
	v_lshlrev_b32_e32 v33, 3, v33
	v_add_f32_e32 v5, v34, v16
	v_fma_f32 v13, v15, 2.0, -v9
	v_fma_f32 v16, v7, 2.0, -v12
	;; [unrolled: 1-line block ×4, first 2 shown]
	ds_store_2addr_stride64_b64 v33, v[15:16], v[13:14] offset1:1
	ds_store_2addr_stride64_b64 v33, v[7:8], v[3:4] offset0:2 offset1:3
	ds_store_2addr_stride64_b64 v33, v[11:12], v[9:10] offset0:4 offset1:5
	;; [unrolled: 1-line block ×3, first 2 shown]
.LBB0_21:
	s_wait_alu 0xfffe
	s_or_b32 exec_lo, exec_lo, s1
	global_wb scope:SCOPE_SE
	s_wait_dscnt 0x0
	s_barrier_signal -1
	s_barrier_wait -1
	global_inv scope:SCOPE_SE
	ds_load_2addr_stride64_b64 v[1:4], v76 offset0:32 offset1:48
	ds_load_2addr_stride64_b64 v[5:8], v76 offset0:64 offset1:72
	ds_load_b64 v[33:34], v79
	ds_load_2addr_stride64_b64 v[9:12], v76 offset1:8
	ds_load_2addr_stride64_b64 v[13:16], v76 offset0:16 offset1:24
	ds_load_b64 v[35:36], v76 offset:40960
	ds_load_b64 v[37:38], v78
	ds_load_b64 v[39:40], v77
	global_wb scope:SCOPE_SE
	s_wait_dscnt 0x0
	s_barrier_signal -1
	s_barrier_wait -1
	global_inv scope:SCOPE_SE
	v_dual_mul_f32 v41, v18, v2 :: v_dual_mul_f32 v44, v20, v5
	v_dual_mul_f32 v45, v18, v34 :: v_dual_mul_f32 v48, v20, v7
	;; [unrolled: 1-line block ×4, first 2 shown]
	s_delay_alu instid0(VALU_DEP_4)
	v_fmac_f32_e32 v41, v17, v1
	v_fma_f32 v6, v19, v6, -v44
	v_fmac_f32_e32 v45, v17, v33
	v_fma_f32 v33, v17, v34, -v46
	v_mul_f32_e32 v46, v18, v40
	v_mul_f32_e32 v34, v18, v4
	;; [unrolled: 1-line block ×3, first 2 shown]
	v_fma_f32 v2, v17, v2, -v42
	v_dual_fmac_f32 v43, v19, v5 :: v_dual_mul_f32 v42, v20, v36
	s_delay_alu instid0(VALU_DEP_4)
	v_fmac_f32_e32 v34, v17, v3
	v_mul_f32_e32 v3, v20, v35
	v_fma_f32 v44, v17, v4, -v1
	v_mul_f32_e32 v1, v18, v39
	v_dual_fmac_f32 v47, v19, v7 :: v_dual_add_f32 v4, v9, v41
	v_fmac_f32_e32 v42, v19, v35
	v_fma_f32 v18, v19, v36, -v3
	v_mul_f32_e32 v3, v20, v37
	v_mul_f32_e32 v35, v20, v38
	v_fma_f32 v36, v17, v40, -v1
	v_add_f32_e32 v1, v41, v43
	v_dual_add_f32 v5, v2, v6 :: v_dual_fmac_f32 v46, v17, v39
	s_delay_alu instid0(VALU_DEP_4)
	v_fmac_f32_e32 v35, v19, v37
	v_fma_f32 v37, v19, v38, -v3
	v_sub_f32_e32 v7, v2, v6
	v_dual_add_f32 v3, v4, v43 :: v_dual_add_f32 v4, v10, v2
	v_fma_f32 v2, -0.5, v5, v10
	v_add_f32_e32 v10, v11, v45
	v_fma_f32 v1, -0.5, v1, v9
	v_fma_f32 v8, v19, v8, -v48
	v_dual_sub_f32 v19, v45, v47 :: v_dual_add_f32 v4, v4, v6
	s_delay_alu instid0(VALU_DEP_3) | instskip(SKIP_4) | instid1(VALU_DEP_3)
	v_dual_add_f32 v20, v13, v34 :: v_dual_fmamk_f32 v5, v7, 0xbf5db3d7, v1
	v_fmac_f32_e32 v1, 0x3f5db3d7, v7
	v_add_f32_e32 v7, v45, v47
	v_dual_sub_f32 v17, v33, v8 :: v_dual_sub_f32 v40, v46, v35
	v_add_f32_e32 v38, v15, v46
	v_fma_f32 v11, -0.5, v7, v11
	v_dual_add_f32 v7, v10, v47 :: v_dual_add_f32 v10, v12, v33
	v_sub_f32_e32 v9, v41, v43
	s_delay_alu instid0(VALU_DEP_1) | instskip(SKIP_1) | instid1(VALU_DEP_4)
	v_fmamk_f32 v6, v9, 0x3f5db3d7, v2
	v_dual_fmac_f32 v2, 0xbf5db3d7, v9 :: v_dual_add_f32 v9, v33, v8
	v_dual_add_f32 v8, v10, v8 :: v_dual_sub_f32 v33, v44, v18
	s_delay_alu instid0(VALU_DEP_2) | instskip(SKIP_3) | instid1(VALU_DEP_4)
	v_dual_fmac_f32 v12, -0.5, v9 :: v_dual_fmamk_f32 v9, v17, 0xbf5db3d7, v11
	v_fmac_f32_e32 v11, 0x3f5db3d7, v17
	v_add_f32_e32 v17, v34, v42
	v_sub_f32_e32 v34, v34, v42
	v_fmamk_f32 v10, v19, 0x3f5db3d7, v12
	v_dual_fmac_f32 v12, 0xbf5db3d7, v19 :: v_dual_add_f32 v19, v44, v18
	s_delay_alu instid0(VALU_DEP_4) | instskip(SKIP_1) | instid1(VALU_DEP_3)
	v_fma_f32 v13, -0.5, v17, v13
	v_dual_add_f32 v17, v20, v42 :: v_dual_add_f32 v20, v14, v44
	v_fma_f32 v14, -0.5, v19, v14
	s_delay_alu instid0(VALU_DEP_2) | instskip(NEXT) | instid1(VALU_DEP_2)
	v_add_f32_e32 v18, v20, v18
	v_fmamk_f32 v20, v34, 0x3f5db3d7, v14
	v_fmac_f32_e32 v14, 0xbf5db3d7, v34
	v_add_f32_e32 v34, v36, v37
	v_sub_f32_e32 v39, v36, v37
	v_add_f32_e32 v36, v16, v36
	s_delay_alu instid0(VALU_DEP_3) | instskip(NEXT) | instid1(VALU_DEP_2)
	v_fmac_f32_e32 v16, -0.5, v34
	v_add_f32_e32 v34, v36, v37
	s_delay_alu instid0(VALU_DEP_2) | instskip(SKIP_3) | instid1(VALU_DEP_1)
	v_fmamk_f32 v36, v40, 0x3f5db3d7, v16
	v_dual_fmac_f32 v16, 0xbf5db3d7, v40 :: v_dual_fmamk_f32 v19, v33, 0xbf5db3d7, v13
	v_fmac_f32_e32 v13, 0x3f5db3d7, v33
	v_add_f32_e32 v33, v46, v35
	v_fma_f32 v15, -0.5, v33, v15
	v_add_f32_e32 v33, v38, v35
	s_delay_alu instid0(VALU_DEP_2)
	v_fmamk_f32 v35, v39, 0xbf5db3d7, v15
	v_fmac_f32_e32 v15, 0x3f5db3d7, v39
	ds_store_2addr_stride64_b64 v76, v[3:4], v[5:6] offset1:8
	ds_store_2addr_stride64_b64 v76, v[1:2], v[7:8] offset0:16 offset1:24
	ds_store_2addr_stride64_b64 v76, v[9:10], v[17:18] offset0:32 offset1:48
	ds_store_b64 v79, v[11:12]
	ds_store_b64 v77, v[19:20]
	ds_store_2addr_stride64_b64 v76, v[13:14], v[33:34] offset0:64 offset1:72
	ds_store_b64 v76, v[35:36] offset:40960
	ds_store_b64 v78, v[15:16]
	global_wb scope:SCOPE_SE
	s_wait_dscnt 0x0
	s_barrier_signal -1
	s_barrier_wait -1
	global_inv scope:SCOPE_SE
	ds_load_2addr_stride64_b64 v[1:4], v76 offset0:16 offset1:24
	ds_load_2addr_stride64_b64 v[5:8], v76 offset0:32 offset1:48
	;; [unrolled: 1-line block ×3, first 2 shown]
	ds_load_b64 v[17:18], v77
	ds_load_b64 v[19:20], v76 offset:40960
	ds_load_2addr_stride64_b64 v[13:16], v76 offset1:8
	ds_load_b64 v[33:34], v79
	ds_load_b64 v[35:36], v78
	s_wait_dscnt 0x7
	v_mul_f32_e32 v37, v22, v4
	s_wait_dscnt 0x5
	v_mul_f32_e32 v38, v75, v12
	v_mul_f32_e32 v39, v75, v11
	s_delay_alu instid0(VALU_DEP_3) | instskip(SKIP_4) | instid1(VALU_DEP_4)
	v_fmac_f32_e32 v37, v21, v3
	v_dual_mul_f32 v3, v22, v3 :: v_dual_mul_f32 v22, v24, v8
	v_mul_f32_e32 v24, v24, v7
	v_fmac_f32_e32 v38, v74, v11
	v_mul_f32_e32 v11, v26, v5
	v_fma_f32 v3, v21, v4, -v3
	s_wait_dscnt 0x4
	v_dual_fmac_f32 v22, v23, v7 :: v_dual_mul_f32 v21, v28, v17
	v_fma_f32 v4, v23, v8, -v24
	v_fma_f32 v7, v74, v12, -v39
	v_mul_f32_e32 v8, v26, v6
	s_wait_dscnt 0x3
	v_dual_mul_f32 v12, v28, v18 :: v_dual_mul_f32 v23, v73, v20
	v_fma_f32 v6, v25, v6, -v11
	v_fma_f32 v11, v27, v18, -v21
	v_mul_f32_e32 v21, v32, v9
	v_fmac_f32_e32 v8, v25, v5
	v_dual_fmac_f32 v12, v27, v17 :: v_dual_fmac_f32 v23, v72, v19
	s_wait_dscnt 0x2
	v_dual_mul_f32 v5, v73, v19 :: v_dual_sub_f32 v24, v14, v4
	v_mul_f32_e32 v19, v32, v10
	v_fma_f32 v21, v31, v10, -v21
	v_sub_f32_e32 v10, v13, v22
	s_wait_dscnt 0x0
	v_mul_f32_e32 v22, v71, v36
	v_sub_f32_e32 v7, v3, v7
	v_fma_f32 v14, v14, 2.0, -v24
	v_sub_f32_e32 v28, v2, v21
	v_fma_f32 v20, v72, v20, -v5
	v_dual_fmac_f32 v22, v70, v35 :: v_dual_fmac_f32 v19, v31, v9
	v_fma_f32 v25, v3, 2.0, -v7
	v_sub_f32_e32 v9, v37, v38
	v_fma_f32 v5, v13, 2.0, -v10
	v_mul_f32_e32 v13, v71, v35
	v_dual_sub_f32 v23, v8, v23 :: v_dual_mul_f32 v18, v30, v33
	s_delay_alu instid0(VALU_DEP_4) | instskip(SKIP_1) | instid1(VALU_DEP_4)
	v_fma_f32 v4, v37, 2.0, -v9
	v_add_f32_e32 v7, v10, v7
	v_fma_f32 v26, v70, v36, -v13
	s_delay_alu instid0(VALU_DEP_4) | instskip(NEXT) | instid1(VALU_DEP_4)
	v_fma_f32 v18, v29, v34, -v18
	v_dual_sub_f32 v3, v5, v4 :: v_dual_sub_f32 v4, v14, v25
	v_sub_f32_e32 v25, v16, v11
	v_sub_f32_e32 v27, v15, v12
	v_mul_f32_e32 v17, v30, v34
	v_fma_f32 v11, v8, 2.0, -v23
	v_sub_f32_e32 v8, v24, v9
	v_fma_f32 v16, v16, 2.0, -v25
	v_fma_f32 v13, v15, 2.0, -v27
	v_sub_f32_e32 v15, v6, v20
	v_fma_f32 v5, v5, 2.0, -v3
	v_fma_f32 v12, v24, 2.0, -v8
	s_delay_alu instid0(VALU_DEP_4) | instskip(NEXT) | instid1(VALU_DEP_4)
	v_sub_f32_e32 v9, v13, v11
	v_fma_f32 v20, v6, 2.0, -v15
	v_fmac_f32_e32 v17, v29, v33
	v_fma_f32 v11, v10, 2.0, -v7
	v_fma_f32 v6, v14, 2.0, -v4
	;; [unrolled: 1-line block ×3, first 2 shown]
	v_sub_f32_e32 v10, v16, v20
	v_sub_f32_e32 v20, v17, v22
	v_dual_sub_f32 v24, v1, v19 :: v_dual_sub_f32 v19, v18, v26
	v_fma_f32 v22, v2, 2.0, -v28
	s_delay_alu instid0(VALU_DEP_4) | instskip(NEXT) | instid1(VALU_DEP_4)
	v_fma_f32 v14, v16, 2.0, -v10
	v_fma_f32 v2, v17, 2.0, -v20
	s_delay_alu instid0(VALU_DEP_4)
	v_fma_f32 v21, v1, 2.0, -v24
	v_fma_f32 v18, v18, 2.0, -v19
	v_sub_f32_e32 v16, v25, v23
	v_add_f32_e32 v15, v27, v15
	v_add_f32_e32 v19, v24, v19
	v_sub_f32_e32 v17, v21, v2
	v_sub_f32_e32 v18, v22, v18
	;; [unrolled: 1-line block ×3, first 2 shown]
	v_fma_f32 v1, v27, 2.0, -v15
	v_fma_f32 v2, v25, 2.0, -v16
	v_fma_f32 v21, v21, 2.0, -v17
	v_fma_f32 v22, v22, 2.0, -v18
	v_fma_f32 v23, v24, 2.0, -v19
	v_fma_f32 v24, v28, 2.0, -v20
	ds_store_2addr_stride64_b64 v76, v[5:6], v[13:14] offset1:8
	ds_store_2addr_stride64_b64 v76, v[1:2], v[3:4] offset0:32 offset1:48
	ds_store_2addr_stride64_b64 v76, v[21:22], v[11:12] offset0:16 offset1:24
	ds_store_b64 v77, v[9:10]
	ds_store_b64 v79, v[23:24]
	ds_store_2addr_stride64_b64 v76, v[17:18], v[7:8] offset0:64 offset1:72
	ds_store_b64 v76, v[15:16] offset:40960
	ds_store_b64 v78, v[19:20]
	global_wb scope:SCOPE_SE
	s_wait_dscnt 0x0
	s_barrier_signal -1
	s_barrier_wait -1
	global_inv scope:SCOPE_SE
	s_and_b32 exec_lo, exec_lo, vcc_lo
	s_cbranch_execz .LBB0_23
; %bb.22:
	s_clause 0xb
	global_load_b64 v[25:26], v76, s[8:9]
	global_load_b64 v[27:28], v76, s[8:9] offset:3072
	global_load_b64 v[29:30], v76, s[8:9] offset:6144
	;; [unrolled: 1-line block ×11, first 2 shown]
	v_mad_co_u64_u32 v[13:14], null, s6, v65, 0
	v_mad_co_u64_u32 v[49:50], null, s4, v0, 0
	s_mov_b32 s2, 0x55555555
	s_mov_b32 s3, 0x3f255555
	s_mul_u64 s[0:1], s[4:5], 0xc00
	s_delay_alu instid0(VALU_DEP_2) | instskip(NEXT) | instid1(VALU_DEP_2)
	v_mov_b32_e32 v1, v14
	v_mov_b32_e32 v5, v50
	s_delay_alu instid0(VALU_DEP_2)
	v_mad_co_u64_u32 v[9:10], null, s7, v65, v[1:2]
	ds_load_2addr_stride64_b64 v[1:4], v76 offset1:6
	v_mad_co_u64_u32 v[15:16], null, s5, v0, v[5:6]
	ds_load_2addr_stride64_b64 v[5:8], v76 offset0:12 offset1:18
	v_mov_b32_e32 v14, v9
	ds_load_2addr_stride64_b64 v[9:12], v76 offset0:24 offset1:30
	v_mov_b32_e32 v50, v15
	v_lshlrev_b64_e32 v[51:52], 3, v[13:14]
	ds_load_2addr_stride64_b64 v[13:16], v76 offset0:36 offset1:42
	ds_load_2addr_stride64_b64 v[17:20], v76 offset0:48 offset1:54
	ds_load_2addr_stride64_b64 v[21:24], v76 offset0:60 offset1:66
	v_lshlrev_b64_e32 v[49:50], 3, v[49:50]
	v_add_co_u32 v51, vcc_lo, s12, v51
	v_add_co_ci_u32_e32 v52, vcc_lo, s13, v52, vcc_lo
	s_wait_loadcnt_dscnt 0xa05
	v_dual_mul_f32 v0, v2, v26 :: v_dual_mul_f32 v53, v4, v28
	s_wait_loadcnt_dscnt 0x804
	v_dual_mul_f32 v26, v1, v26 :: v_dual_mul_f32 v55, v8, v32
	v_mul_f32_e32 v28, v3, v28
	s_wait_loadcnt_dscnt 0x603
	v_dual_mul_f32 v54, v6, v30 :: v_dual_mul_f32 v57, v12, v36
	s_wait_loadcnt_dscnt 0x402
	v_dual_mul_f32 v30, v5, v30 :: v_dual_mul_f32 v59, v16, v40
	v_mul_f32_e32 v32, v7, v32
	;; [unrolled: 5-line block ×3, first 2 shown]
	v_fmac_f32_e32 v0, v1, v25
	v_fma_f32 v2, v25, v2, -v26
	v_dual_mul_f32 v58, v14, v38 :: v_dual_fmac_f32 v53, v3, v27
	v_dual_mul_f32 v38, v13, v38 :: v_dual_fmac_f32 v55, v7, v31
	v_fma_f32 v25, v27, v4, -v28
	v_mul_f32_e32 v40, v15, v40
	v_fmac_f32_e32 v54, v5, v29
	v_fma_f32 v26, v29, v6, -v30
	v_dual_mul_f32 v60, v18, v42 :: v_dual_fmac_f32 v57, v11, v35
	v_dual_mul_f32 v42, v17, v42 :: v_dual_fmac_f32 v59, v15, v39
	v_fma_f32 v27, v31, v8, -v32
	v_mul_f32_e32 v44, v19, v44
	v_fmac_f32_e32 v56, v9, v33
	v_fma_f32 v28, v33, v10, -v34
	v_dual_mul_f32 v62, v22, v46 :: v_dual_fmac_f32 v61, v19, v43
	v_dual_mul_f32 v46, v21, v46 :: v_dual_fmac_f32 v63, v23, v47
	v_fma_f32 v29, v35, v12, -v36
	v_cvt_f64_f32_e32 v[0:1], v0
	v_cvt_f64_f32_e32 v[2:3], v2
	v_mul_f32_e32 v48, v23, v48
	v_fmac_f32_e32 v58, v13, v37
	v_fma_f32 v30, v37, v14, -v38
	v_cvt_f64_f32_e32 v[4:5], v53
	v_cvt_f64_f32_e32 v[6:7], v25
	v_fma_f32 v31, v39, v16, -v40
	v_cvt_f64_f32_e32 v[8:9], v54
	v_cvt_f64_f32_e32 v[10:11], v26
	v_fmac_f32_e32 v60, v17, v41
	v_fma_f32 v34, v41, v18, -v42
	v_cvt_f64_f32_e32 v[12:13], v55
	v_cvt_f64_f32_e32 v[14:15], v27
	v_fma_f32 v38, v43, v20, -v44
	v_cvt_f64_f32_e32 v[16:17], v56
	v_cvt_f64_f32_e32 v[18:19], v28
	;; [unrolled: 7-line block ×3, first 2 shown]
	v_cvt_f64_f32_e32 v[28:29], v59
	v_cvt_f64_f32_e32 v[30:31], v31
	;; [unrolled: 1-line block ×10, first 2 shown]
	v_add_co_u32 v48, vcc_lo, v51, v49
	s_wait_alu 0xfffd
	v_add_co_ci_u32_e32 v49, vcc_lo, v52, v50, vcc_lo
	s_wait_alu 0xfffe
	v_mul_f64_e32 v[0:1], s[2:3], v[0:1]
	v_mul_f64_e32 v[2:3], s[2:3], v[2:3]
	v_add_co_u32 v50, vcc_lo, v48, s0
	s_wait_alu 0xfffd
	v_add_co_ci_u32_e32 v51, vcc_lo, s1, v49, vcc_lo
	v_mul_f64_e32 v[4:5], s[2:3], v[4:5]
	v_mul_f64_e32 v[6:7], s[2:3], v[6:7]
	;; [unrolled: 1-line block ×4, first 2 shown]
	v_add_co_u32 v52, vcc_lo, v50, s0
	v_mul_f64_e32 v[12:13], s[2:3], v[12:13]
	v_mul_f64_e32 v[14:15], s[2:3], v[14:15]
	s_wait_alu 0xfffd
	v_add_co_ci_u32_e32 v53, vcc_lo, s1, v51, vcc_lo
	v_mul_f64_e32 v[16:17], s[2:3], v[16:17]
	v_mul_f64_e32 v[18:19], s[2:3], v[18:19]
	v_add_co_u32 v54, vcc_lo, v52, s0
	v_mul_f64_e32 v[20:21], s[2:3], v[20:21]
	v_mul_f64_e32 v[22:23], s[2:3], v[22:23]
	;; [unrolled: 1-line block ×14, first 2 shown]
	s_wait_alu 0xfffd
	v_add_co_ci_u32_e32 v55, vcc_lo, s1, v53, vcc_lo
	v_add_co_u32 v56, vcc_lo, v54, s0
	v_cvt_f32_f64_e32 v0, v[0:1]
	v_cvt_f32_f64_e32 v1, v[2:3]
	s_wait_alu 0xfffd
	v_add_co_ci_u32_e32 v57, vcc_lo, s1, v55, vcc_lo
	v_add_co_u32 v58, vcc_lo, v56, s0
	v_cvt_f32_f64_e32 v2, v[4:5]
	v_cvt_f32_f64_e32 v3, v[6:7]
	;; [unrolled: 1-line block ×4, first 2 shown]
	s_wait_alu 0xfffd
	v_add_co_ci_u32_e32 v59, vcc_lo, s1, v57, vcc_lo
	v_cvt_f32_f64_e32 v6, v[12:13]
	v_cvt_f32_f64_e32 v7, v[14:15]
	;; [unrolled: 1-line block ×18, first 2 shown]
	v_add_co_u32 v24, vcc_lo, v58, s0
	s_wait_alu 0xfffd
	v_add_co_ci_u32_e32 v25, vcc_lo, s1, v59, vcc_lo
	s_delay_alu instid0(VALU_DEP_2) | instskip(SKIP_1) | instid1(VALU_DEP_2)
	v_add_co_u32 v26, vcc_lo, v24, s0
	s_wait_alu 0xfffd
	v_add_co_ci_u32_e32 v27, vcc_lo, s1, v25, vcc_lo
	s_delay_alu instid0(VALU_DEP_2) | instskip(SKIP_1) | instid1(VALU_DEP_2)
	;; [unrolled: 4-line block ×5, first 2 shown]
	v_add_co_u32 v34, vcc_lo, v32, s0
	s_wait_alu 0xfffd
	v_add_co_ci_u32_e32 v35, vcc_lo, s1, v33, vcc_lo
	s_clause 0x4
	global_store_b64 v[48:49], v[0:1], off
	global_store_b64 v[50:51], v[2:3], off
	;; [unrolled: 1-line block ×12, first 2 shown]
	global_load_b64 v[4:5], v76, s[8:9] offset:36864
	ds_load_2addr_stride64_b64 v[0:3], v76 offset0:72 offset1:78
	s_wait_loadcnt_dscnt 0x0
	v_mul_f32_e32 v6, v1, v5
	v_mul_f32_e32 v5, v0, v5
	s_delay_alu instid0(VALU_DEP_2) | instskip(NEXT) | instid1(VALU_DEP_2)
	v_fmac_f32_e32 v6, v0, v4
	v_fma_f32 v4, v4, v1, -v5
	s_delay_alu instid0(VALU_DEP_2) | instskip(NEXT) | instid1(VALU_DEP_2)
	v_cvt_f64_f32_e32 v[0:1], v6
	v_cvt_f64_f32_e32 v[4:5], v4
	s_delay_alu instid0(VALU_DEP_2) | instskip(NEXT) | instid1(VALU_DEP_2)
	v_mul_f64_e32 v[0:1], s[2:3], v[0:1]
	v_mul_f64_e32 v[4:5], s[2:3], v[4:5]
	s_delay_alu instid0(VALU_DEP_2) | instskip(NEXT) | instid1(VALU_DEP_2)
	v_cvt_f32_f64_e32 v0, v[0:1]
	v_cvt_f32_f64_e32 v1, v[4:5]
	v_add_co_u32 v4, vcc_lo, v34, s0
	s_wait_alu 0xfffd
	v_add_co_ci_u32_e32 v5, vcc_lo, s1, v35, vcc_lo
	global_store_b64 v[4:5], v[0:1], off
	global_load_b64 v[0:1], v76, s[8:9] offset:39936
	v_add_co_u32 v4, vcc_lo, v4, s0
	s_wait_alu 0xfffd
	v_add_co_ci_u32_e32 v5, vcc_lo, s1, v5, vcc_lo
	s_wait_loadcnt 0x0
	v_mul_f32_e32 v6, v3, v1
	v_mul_f32_e32 v1, v2, v1
	s_delay_alu instid0(VALU_DEP_2) | instskip(NEXT) | instid1(VALU_DEP_2)
	v_fmac_f32_e32 v6, v2, v0
	v_fma_f32 v2, v0, v3, -v1
	s_delay_alu instid0(VALU_DEP_2) | instskip(NEXT) | instid1(VALU_DEP_2)
	v_cvt_f64_f32_e32 v[0:1], v6
	v_cvt_f64_f32_e32 v[2:3], v2
	s_delay_alu instid0(VALU_DEP_2) | instskip(NEXT) | instid1(VALU_DEP_2)
	v_mul_f64_e32 v[0:1], s[2:3], v[0:1]
	v_mul_f64_e32 v[2:3], s[2:3], v[2:3]
	s_delay_alu instid0(VALU_DEP_2) | instskip(NEXT) | instid1(VALU_DEP_2)
	v_cvt_f32_f64_e32 v0, v[0:1]
	v_cvt_f32_f64_e32 v1, v[2:3]
	global_store_b64 v[4:5], v[0:1], off
	global_load_b64 v[6:7], v76, s[8:9] offset:43008
	ds_load_2addr_stride64_b64 v[0:3], v76 offset0:84 offset1:90
	v_add_co_u32 v4, vcc_lo, v4, s0
	s_wait_alu 0xfffd
	v_add_co_ci_u32_e32 v5, vcc_lo, s1, v5, vcc_lo
	s_wait_loadcnt_dscnt 0x0
	v_mul_f32_e32 v8, v1, v7
	v_mul_f32_e32 v7, v0, v7
	s_delay_alu instid0(VALU_DEP_2) | instskip(NEXT) | instid1(VALU_DEP_2)
	v_fmac_f32_e32 v8, v0, v6
	v_fma_f32 v6, v6, v1, -v7
	s_delay_alu instid0(VALU_DEP_2) | instskip(NEXT) | instid1(VALU_DEP_2)
	v_cvt_f64_f32_e32 v[0:1], v8
	v_cvt_f64_f32_e32 v[6:7], v6
	s_delay_alu instid0(VALU_DEP_2) | instskip(NEXT) | instid1(VALU_DEP_2)
	v_mul_f64_e32 v[0:1], s[2:3], v[0:1]
	v_mul_f64_e32 v[6:7], s[2:3], v[6:7]
	s_delay_alu instid0(VALU_DEP_2) | instskip(NEXT) | instid1(VALU_DEP_2)
	v_cvt_f32_f64_e32 v0, v[0:1]
	v_cvt_f32_f64_e32 v1, v[6:7]
	global_store_b64 v[4:5], v[0:1], off
	global_load_b64 v[0:1], v76, s[8:9] offset:46080
	s_wait_loadcnt 0x0
	v_mul_f32_e32 v6, v3, v1
	v_mul_f32_e32 v1, v2, v1
	s_delay_alu instid0(VALU_DEP_2) | instskip(NEXT) | instid1(VALU_DEP_2)
	v_fmac_f32_e32 v6, v2, v0
	v_fma_f32 v2, v0, v3, -v1
	s_delay_alu instid0(VALU_DEP_2) | instskip(NEXT) | instid1(VALU_DEP_2)
	v_cvt_f64_f32_e32 v[0:1], v6
	v_cvt_f64_f32_e32 v[2:3], v2
	s_delay_alu instid0(VALU_DEP_2) | instskip(NEXT) | instid1(VALU_DEP_2)
	v_mul_f64_e32 v[0:1], s[2:3], v[0:1]
	v_mul_f64_e32 v[2:3], s[2:3], v[2:3]
	s_delay_alu instid0(VALU_DEP_2) | instskip(NEXT) | instid1(VALU_DEP_2)
	v_cvt_f32_f64_e32 v0, v[0:1]
	v_cvt_f32_f64_e32 v1, v[2:3]
	v_add_co_u32 v2, vcc_lo, v4, s0
	s_wait_alu 0xfffd
	v_add_co_ci_u32_e32 v3, vcc_lo, s1, v5, vcc_lo
	global_store_b64 v[2:3], v[0:1], off
.LBB0_23:
	s_nop 0
	s_sendmsg sendmsg(MSG_DEALLOC_VGPRS)
	s_endpgm
	.section	.rodata,"a",@progbits
	.p2align	6, 0x0
	.amdhsa_kernel bluestein_single_fwd_len6144_dim1_sp_op_CI_CI
		.amdhsa_group_segment_fixed_size 49152
		.amdhsa_private_segment_fixed_size 0
		.amdhsa_kernarg_size 104
		.amdhsa_user_sgpr_count 2
		.amdhsa_user_sgpr_dispatch_ptr 0
		.amdhsa_user_sgpr_queue_ptr 0
		.amdhsa_user_sgpr_kernarg_segment_ptr 1
		.amdhsa_user_sgpr_dispatch_id 0
		.amdhsa_user_sgpr_private_segment_size 0
		.amdhsa_wavefront_size32 1
		.amdhsa_uses_dynamic_stack 0
		.amdhsa_enable_private_segment 0
		.amdhsa_system_sgpr_workgroup_id_x 1
		.amdhsa_system_sgpr_workgroup_id_y 0
		.amdhsa_system_sgpr_workgroup_id_z 0
		.amdhsa_system_sgpr_workgroup_info 0
		.amdhsa_system_vgpr_workitem_id 0
		.amdhsa_next_free_vgpr 168
		.amdhsa_next_free_sgpr 14
		.amdhsa_reserve_vcc 1
		.amdhsa_float_round_mode_32 0
		.amdhsa_float_round_mode_16_64 0
		.amdhsa_float_denorm_mode_32 3
		.amdhsa_float_denorm_mode_16_64 3
		.amdhsa_fp16_overflow 0
		.amdhsa_workgroup_processor_mode 1
		.amdhsa_memory_ordered 1
		.amdhsa_forward_progress 0
		.amdhsa_round_robin_scheduling 0
		.amdhsa_exception_fp_ieee_invalid_op 0
		.amdhsa_exception_fp_denorm_src 0
		.amdhsa_exception_fp_ieee_div_zero 0
		.amdhsa_exception_fp_ieee_overflow 0
		.amdhsa_exception_fp_ieee_underflow 0
		.amdhsa_exception_fp_ieee_inexact 0
		.amdhsa_exception_int_div_zero 0
	.end_amdhsa_kernel
	.text
.Lfunc_end0:
	.size	bluestein_single_fwd_len6144_dim1_sp_op_CI_CI, .Lfunc_end0-bluestein_single_fwd_len6144_dim1_sp_op_CI_CI
                                        ; -- End function
	.section	.AMDGPU.csdata,"",@progbits
; Kernel info:
; codeLenInByte = 13384
; NumSgprs: 16
; NumVgprs: 168
; ScratchSize: 0
; MemoryBound: 0
; FloatMode: 240
; IeeeMode: 1
; LDSByteSize: 49152 bytes/workgroup (compile time only)
; SGPRBlocks: 1
; VGPRBlocks: 20
; NumSGPRsForWavesPerEU: 16
; NumVGPRsForWavesPerEU: 168
; Occupancy: 8
; WaveLimiterHint : 1
; COMPUTE_PGM_RSRC2:SCRATCH_EN: 0
; COMPUTE_PGM_RSRC2:USER_SGPR: 2
; COMPUTE_PGM_RSRC2:TRAP_HANDLER: 0
; COMPUTE_PGM_RSRC2:TGID_X_EN: 1
; COMPUTE_PGM_RSRC2:TGID_Y_EN: 0
; COMPUTE_PGM_RSRC2:TGID_Z_EN: 0
; COMPUTE_PGM_RSRC2:TIDIG_COMP_CNT: 0
	.text
	.p2alignl 7, 3214868480
	.fill 96, 4, 3214868480
	.type	__hip_cuid_94b16ec30a1c7298,@object ; @__hip_cuid_94b16ec30a1c7298
	.section	.bss,"aw",@nobits
	.globl	__hip_cuid_94b16ec30a1c7298
__hip_cuid_94b16ec30a1c7298:
	.byte	0                               ; 0x0
	.size	__hip_cuid_94b16ec30a1c7298, 1

	.ident	"AMD clang version 19.0.0git (https://github.com/RadeonOpenCompute/llvm-project roc-6.4.0 25133 c7fe45cf4b819c5991fe208aaa96edf142730f1d)"
	.section	".note.GNU-stack","",@progbits
	.addrsig
	.addrsig_sym __hip_cuid_94b16ec30a1c7298
	.amdgpu_metadata
---
amdhsa.kernels:
  - .args:
      - .actual_access:  read_only
        .address_space:  global
        .offset:         0
        .size:           8
        .value_kind:     global_buffer
      - .actual_access:  read_only
        .address_space:  global
        .offset:         8
        .size:           8
        .value_kind:     global_buffer
      - .actual_access:  read_only
        .address_space:  global
        .offset:         16
        .size:           8
        .value_kind:     global_buffer
      - .actual_access:  read_only
        .address_space:  global
        .offset:         24
        .size:           8
        .value_kind:     global_buffer
      - .actual_access:  read_only
        .address_space:  global
        .offset:         32
        .size:           8
        .value_kind:     global_buffer
      - .offset:         40
        .size:           8
        .value_kind:     by_value
      - .address_space:  global
        .offset:         48
        .size:           8
        .value_kind:     global_buffer
      - .address_space:  global
        .offset:         56
        .size:           8
        .value_kind:     global_buffer
      - .address_space:  global
        .offset:         64
        .size:           8
        .value_kind:     global_buffer
      - .address_space:  global
        .offset:         72
        .size:           8
        .value_kind:     global_buffer
      - .offset:         80
        .size:           4
        .value_kind:     by_value
      - .address_space:  global
        .offset:         88
        .size:           8
        .value_kind:     global_buffer
      - .address_space:  global
        .offset:         96
        .size:           8
        .value_kind:     global_buffer
    .group_segment_fixed_size: 49152
    .kernarg_segment_align: 8
    .kernarg_segment_size: 104
    .language:       OpenCL C
    .language_version:
      - 2
      - 0
    .max_flat_workgroup_size: 512
    .name:           bluestein_single_fwd_len6144_dim1_sp_op_CI_CI
    .private_segment_fixed_size: 0
    .sgpr_count:     16
    .sgpr_spill_count: 0
    .symbol:         bluestein_single_fwd_len6144_dim1_sp_op_CI_CI.kd
    .uniform_work_group_size: 1
    .uses_dynamic_stack: false
    .vgpr_count:     168
    .vgpr_spill_count: 0
    .wavefront_size: 32
    .workgroup_processor_mode: 1
amdhsa.target:   amdgcn-amd-amdhsa--gfx1201
amdhsa.version:
  - 1
  - 2
...

	.end_amdgpu_metadata
